;; amdgpu-corpus repo=ROCm/rocFFT kind=compiled arch=gfx906 opt=O3
	.text
	.amdgcn_target "amdgcn-amd-amdhsa--gfx906"
	.amdhsa_code_object_version 6
	.protected	fft_rtc_back_len1260_factors_2_2_3_3_5_7_wgs_63_tpt_63_halfLds_sp_ip_CI_unitstride_sbrr_R2C_dirReg ; -- Begin function fft_rtc_back_len1260_factors_2_2_3_3_5_7_wgs_63_tpt_63_halfLds_sp_ip_CI_unitstride_sbrr_R2C_dirReg
	.globl	fft_rtc_back_len1260_factors_2_2_3_3_5_7_wgs_63_tpt_63_halfLds_sp_ip_CI_unitstride_sbrr_R2C_dirReg
	.p2align	8
	.type	fft_rtc_back_len1260_factors_2_2_3_3_5_7_wgs_63_tpt_63_halfLds_sp_ip_CI_unitstride_sbrr_R2C_dirReg,@function
fft_rtc_back_len1260_factors_2_2_3_3_5_7_wgs_63_tpt_63_halfLds_sp_ip_CI_unitstride_sbrr_R2C_dirReg: ; @fft_rtc_back_len1260_factors_2_2_3_3_5_7_wgs_63_tpt_63_halfLds_sp_ip_CI_unitstride_sbrr_R2C_dirReg
; %bb.0:
	s_load_dwordx2 s[12:13], s[4:5], 0x50
	s_load_dwordx4 s[8:11], s[4:5], 0x0
	s_load_dwordx2 s[2:3], s[4:5], 0x18
	v_mul_u32_u24_e32 v1, 0x411, v0
	v_add_u32_sdwa v5, s6, v1 dst_sel:DWORD dst_unused:UNUSED_PAD src0_sel:DWORD src1_sel:WORD_1
	v_mov_b32_e32 v3, 0
	s_waitcnt lgkmcnt(0)
	v_cmp_lt_u64_e64 s[0:1], s[10:11], 2
	v_mov_b32_e32 v1, 0
	v_mov_b32_e32 v6, v3
	s_and_b64 vcc, exec, s[0:1]
	v_mov_b32_e32 v2, 0
	s_cbranch_vccnz .LBB0_8
; %bb.1:
	s_load_dwordx2 s[0:1], s[4:5], 0x10
	s_add_u32 s6, s2, 8
	s_addc_u32 s7, s3, 0
	v_mov_b32_e32 v1, 0
	v_mov_b32_e32 v2, 0
	s_waitcnt lgkmcnt(0)
	s_add_u32 s14, s0, 8
	s_addc_u32 s15, s1, 0
	s_mov_b64 s[16:17], 1
.LBB0_2:                                ; =>This Inner Loop Header: Depth=1
	s_load_dwordx2 s[18:19], s[14:15], 0x0
                                        ; implicit-def: $vgpr7_vgpr8
	s_waitcnt lgkmcnt(0)
	v_or_b32_e32 v4, s19, v6
	v_cmp_ne_u64_e32 vcc, 0, v[3:4]
	s_and_saveexec_b64 s[0:1], vcc
	s_xor_b64 s[20:21], exec, s[0:1]
	s_cbranch_execz .LBB0_4
; %bb.3:                                ;   in Loop: Header=BB0_2 Depth=1
	v_cvt_f32_u32_e32 v4, s18
	v_cvt_f32_u32_e32 v7, s19
	s_sub_u32 s0, 0, s18
	s_subb_u32 s1, 0, s19
	v_mac_f32_e32 v4, 0x4f800000, v7
	v_rcp_f32_e32 v4, v4
	v_mul_f32_e32 v4, 0x5f7ffffc, v4
	v_mul_f32_e32 v7, 0x2f800000, v4
	v_trunc_f32_e32 v7, v7
	v_mac_f32_e32 v4, 0xcf800000, v7
	v_cvt_u32_f32_e32 v7, v7
	v_cvt_u32_f32_e32 v4, v4
	v_mul_lo_u32 v8, s0, v7
	v_mul_hi_u32 v9, s0, v4
	v_mul_lo_u32 v11, s1, v4
	v_mul_lo_u32 v10, s0, v4
	v_add_u32_e32 v8, v9, v8
	v_add_u32_e32 v8, v8, v11
	v_mul_hi_u32 v9, v4, v10
	v_mul_lo_u32 v11, v4, v8
	v_mul_hi_u32 v13, v4, v8
	v_mul_hi_u32 v12, v7, v10
	v_mul_lo_u32 v10, v7, v10
	v_mul_hi_u32 v14, v7, v8
	v_add_co_u32_e32 v9, vcc, v9, v11
	v_addc_co_u32_e32 v11, vcc, 0, v13, vcc
	v_mul_lo_u32 v8, v7, v8
	v_add_co_u32_e32 v9, vcc, v9, v10
	v_addc_co_u32_e32 v9, vcc, v11, v12, vcc
	v_addc_co_u32_e32 v10, vcc, 0, v14, vcc
	v_add_co_u32_e32 v8, vcc, v9, v8
	v_addc_co_u32_e32 v9, vcc, 0, v10, vcc
	v_add_co_u32_e32 v4, vcc, v4, v8
	v_addc_co_u32_e32 v7, vcc, v7, v9, vcc
	v_mul_lo_u32 v8, s0, v7
	v_mul_hi_u32 v9, s0, v4
	v_mul_lo_u32 v10, s1, v4
	v_mul_lo_u32 v11, s0, v4
	v_add_u32_e32 v8, v9, v8
	v_add_u32_e32 v8, v8, v10
	v_mul_lo_u32 v12, v4, v8
	v_mul_hi_u32 v13, v4, v11
	v_mul_hi_u32 v14, v4, v8
	;; [unrolled: 1-line block ×3, first 2 shown]
	v_mul_lo_u32 v11, v7, v11
	v_mul_hi_u32 v9, v7, v8
	v_add_co_u32_e32 v12, vcc, v13, v12
	v_addc_co_u32_e32 v13, vcc, 0, v14, vcc
	v_mul_lo_u32 v8, v7, v8
	v_add_co_u32_e32 v11, vcc, v12, v11
	v_addc_co_u32_e32 v10, vcc, v13, v10, vcc
	v_addc_co_u32_e32 v9, vcc, 0, v9, vcc
	v_add_co_u32_e32 v8, vcc, v10, v8
	v_addc_co_u32_e32 v9, vcc, 0, v9, vcc
	v_add_co_u32_e32 v4, vcc, v4, v8
	v_addc_co_u32_e32 v9, vcc, v7, v9, vcc
	v_mad_u64_u32 v[7:8], s[0:1], v5, v9, 0
	v_mul_hi_u32 v10, v5, v4
	v_add_co_u32_e32 v11, vcc, v10, v7
	v_addc_co_u32_e32 v12, vcc, 0, v8, vcc
	v_mad_u64_u32 v[7:8], s[0:1], v6, v4, 0
	v_mad_u64_u32 v[9:10], s[0:1], v6, v9, 0
	v_add_co_u32_e32 v4, vcc, v11, v7
	v_addc_co_u32_e32 v4, vcc, v12, v8, vcc
	v_addc_co_u32_e32 v7, vcc, 0, v10, vcc
	v_add_co_u32_e32 v4, vcc, v4, v9
	v_addc_co_u32_e32 v9, vcc, 0, v7, vcc
	v_mul_lo_u32 v10, s19, v4
	v_mul_lo_u32 v11, s18, v9
	v_mad_u64_u32 v[7:8], s[0:1], s18, v4, 0
	v_add3_u32 v8, v8, v11, v10
	v_sub_u32_e32 v10, v6, v8
	v_mov_b32_e32 v11, s19
	v_sub_co_u32_e32 v7, vcc, v5, v7
	v_subb_co_u32_e64 v10, s[0:1], v10, v11, vcc
	v_subrev_co_u32_e64 v11, s[0:1], s18, v7
	v_subbrev_co_u32_e64 v10, s[0:1], 0, v10, s[0:1]
	v_cmp_le_u32_e64 s[0:1], s19, v10
	v_cndmask_b32_e64 v12, 0, -1, s[0:1]
	v_cmp_le_u32_e64 s[0:1], s18, v11
	v_cndmask_b32_e64 v11, 0, -1, s[0:1]
	v_cmp_eq_u32_e64 s[0:1], s19, v10
	v_cndmask_b32_e64 v10, v12, v11, s[0:1]
	v_add_co_u32_e64 v11, s[0:1], 2, v4
	v_addc_co_u32_e64 v12, s[0:1], 0, v9, s[0:1]
	v_add_co_u32_e64 v13, s[0:1], 1, v4
	v_addc_co_u32_e64 v14, s[0:1], 0, v9, s[0:1]
	v_subb_co_u32_e32 v8, vcc, v6, v8, vcc
	v_cmp_ne_u32_e64 s[0:1], 0, v10
	v_cmp_le_u32_e32 vcc, s19, v8
	v_cndmask_b32_e64 v10, v14, v12, s[0:1]
	v_cndmask_b32_e64 v12, 0, -1, vcc
	v_cmp_le_u32_e32 vcc, s18, v7
	v_cndmask_b32_e64 v7, 0, -1, vcc
	v_cmp_eq_u32_e32 vcc, s19, v8
	v_cndmask_b32_e32 v7, v12, v7, vcc
	v_cmp_ne_u32_e32 vcc, 0, v7
	v_cndmask_b32_e64 v7, v13, v11, s[0:1]
	v_cndmask_b32_e32 v8, v9, v10, vcc
	v_cndmask_b32_e32 v7, v4, v7, vcc
.LBB0_4:                                ;   in Loop: Header=BB0_2 Depth=1
	s_andn2_saveexec_b64 s[0:1], s[20:21]
	s_cbranch_execz .LBB0_6
; %bb.5:                                ;   in Loop: Header=BB0_2 Depth=1
	v_cvt_f32_u32_e32 v4, s18
	s_sub_i32 s20, 0, s18
	v_rcp_iflag_f32_e32 v4, v4
	v_mul_f32_e32 v4, 0x4f7ffffe, v4
	v_cvt_u32_f32_e32 v4, v4
	v_mul_lo_u32 v7, s20, v4
	v_mul_hi_u32 v7, v4, v7
	v_add_u32_e32 v4, v4, v7
	v_mul_hi_u32 v4, v5, v4
	v_mul_lo_u32 v7, v4, s18
	v_add_u32_e32 v8, 1, v4
	v_sub_u32_e32 v7, v5, v7
	v_subrev_u32_e32 v9, s18, v7
	v_cmp_le_u32_e32 vcc, s18, v7
	v_cndmask_b32_e32 v7, v7, v9, vcc
	v_cndmask_b32_e32 v4, v4, v8, vcc
	v_add_u32_e32 v8, 1, v4
	v_cmp_le_u32_e32 vcc, s18, v7
	v_cndmask_b32_e32 v7, v4, v8, vcc
	v_mov_b32_e32 v8, v3
.LBB0_6:                                ;   in Loop: Header=BB0_2 Depth=1
	s_or_b64 exec, exec, s[0:1]
	v_mul_lo_u32 v4, v8, s18
	v_mul_lo_u32 v11, v7, s19
	v_mad_u64_u32 v[9:10], s[0:1], v7, s18, 0
	s_load_dwordx2 s[0:1], s[6:7], 0x0
	s_add_u32 s16, s16, 1
	v_add3_u32 v4, v10, v11, v4
	v_sub_co_u32_e32 v5, vcc, v5, v9
	v_subb_co_u32_e32 v4, vcc, v6, v4, vcc
	s_waitcnt lgkmcnt(0)
	v_mul_lo_u32 v4, s0, v4
	v_mul_lo_u32 v6, s1, v5
	v_mad_u64_u32 v[1:2], s[0:1], s0, v5, v[1:2]
	s_addc_u32 s17, s17, 0
	s_add_u32 s6, s6, 8
	v_add3_u32 v2, v6, v2, v4
	v_mov_b32_e32 v4, s10
	v_mov_b32_e32 v5, s11
	s_addc_u32 s7, s7, 0
	v_cmp_ge_u64_e32 vcc, s[16:17], v[4:5]
	s_add_u32 s14, s14, 8
	s_addc_u32 s15, s15, 0
	s_cbranch_vccnz .LBB0_9
; %bb.7:                                ;   in Loop: Header=BB0_2 Depth=1
	v_mov_b32_e32 v5, v7
	v_mov_b32_e32 v6, v8
	s_branch .LBB0_2
.LBB0_8:
	v_mov_b32_e32 v8, v6
	v_mov_b32_e32 v7, v5
.LBB0_9:
	s_lshl_b64 s[0:1], s[10:11], 3
	s_add_u32 s0, s2, s0
	s_addc_u32 s1, s3, s1
	s_load_dwordx2 s[2:3], s[0:1], 0x0
	s_load_dwordx2 s[6:7], s[4:5], 0x20
                                        ; implicit-def: $vgpr50
                                        ; implicit-def: $vgpr49
                                        ; implicit-def: $vgpr48
                                        ; implicit-def: $vgpr45
                                        ; implicit-def: $vgpr47
                                        ; implicit-def: $vgpr44
                                        ; implicit-def: $vgpr43
                                        ; implicit-def: $vgpr42
	s_waitcnt lgkmcnt(0)
	v_mad_u64_u32 v[1:2], s[0:1], s2, v7, v[1:2]
	s_mov_b32 s0, 0x4104105
	v_mul_lo_u32 v3, s2, v8
	v_mul_lo_u32 v4, s3, v7
	v_mul_hi_u32 v5, v0, s0
	v_cmp_gt_u64_e64 s[0:1], s[6:7], v[7:8]
	v_cmp_le_u64_e32 vcc, s[6:7], v[7:8]
	v_add3_u32 v2, v4, v2, v3
	v_mul_u32_u24_e32 v3, 63, v5
	v_sub_u32_e32 v36, v0, v3
	v_add_u32_e32 v38, 63, v36
	s_and_saveexec_b64 s[2:3], vcc
	s_xor_b64 s[2:3], exec, s[2:3]
; %bb.10:
	v_add_u32_e32 v38, 63, v36
	v_add_u32_e32 v50, 0x7e, v36
	;; [unrolled: 1-line block ×9, first 2 shown]
; %bb.11:
	s_or_saveexec_b64 s[2:3], s[2:3]
	v_lshlrev_b64 v[40:41], 3, v[1:2]
	s_xor_b64 exec, exec, s[2:3]
	s_cbranch_execz .LBB0_13
; %bb.12:
	v_mov_b32_e32 v37, 0
	v_mov_b32_e32 v0, s13
	v_add_co_u32_e32 v2, vcc, s12, v40
	v_addc_co_u32_e32 v3, vcc, v0, v41, vcc
	v_lshlrev_b64 v[0:1], 3, v[36:37]
	s_movk_i32 s4, 0x1000
	v_add_co_u32_e32 v0, vcc, v2, v0
	v_addc_co_u32_e32 v1, vcc, v3, v1, vcc
	v_add_co_u32_e32 v18, vcc, s4, v0
	v_addc_co_u32_e32 v19, vcc, 0, v1, vcc
	global_load_dwordx2 v[2:3], v[0:1], off
	global_load_dwordx2 v[4:5], v[0:1], off offset:504
	global_load_dwordx2 v[6:7], v[0:1], off offset:1008
	;; [unrolled: 1-line block ×11, first 2 shown]
	v_add_co_u32_e32 v0, vcc, 0x2000, v0
	global_load_dwordx2 v[28:29], v[18:19], off offset:1952
	global_load_dwordx2 v[30:31], v[18:19], off offset:2456
	;; [unrolled: 1-line block ×4, first 2 shown]
	v_addc_co_u32_e32 v1, vcc, 0, v1, vcc
	global_load_dwordx2 v[51:52], v[18:19], off offset:3968
	global_load_dwordx2 v[53:54], v[0:1], off offset:376
	;; [unrolled: 1-line block ×4, first 2 shown]
	v_lshl_add_u32 v0, v36, 3, 0
	v_add_u32_e32 v42, 0x1800, v0
	v_add_u32_e32 v50, 0x7e, v36
	;; [unrolled: 1-line block ×15, first 2 shown]
	s_waitcnt vmcnt(18)
	ds_write2_b64 v0, v[2:3], v[4:5] offset1:63
	s_waitcnt vmcnt(16)
	ds_write2_b64 v0, v[6:7], v[8:9] offset0:126 offset1:189
	s_waitcnt vmcnt(14)
	ds_write2_b64 v1, v[10:11], v[12:13] offset0:124 offset1:187
	;; [unrolled: 2-line block ×9, first 2 shown]
	v_add_u32_e32 v42, 0x237, v36
.LBB0_13:
	s_or_b64 exec, exec, s[2:3]
	v_lshlrev_b32_e32 v37, 3, v36
	v_add_u32_e32 v59, 0, v37
	s_waitcnt lgkmcnt(0)
	; wave barrier
	s_waitcnt lgkmcnt(0)
	v_add_u32_e32 v0, 0x1000, v59
	ds_read2_b64 v[3:6], v59 offset1:63
	ds_read2_b64 v[7:10], v0 offset0:118 offset1:181
	v_add_u32_e32 v11, 0x400, v59
	v_add_u32_e32 v15, 0xc00, v59
	;; [unrolled: 1-line block ×4, first 2 shown]
	s_waitcnt lgkmcnt(0)
	v_sub_f32_e32 v7, v3, v7
	v_sub_f32_e32 v8, v4, v8
	v_fma_f32 v60, v3, 2.0, -v7
	v_fma_f32 v61, v4, 2.0, -v8
	v_add_u32_e32 v1, 0x1800, v59
	v_add_u32_e32 v4, 0x800, v59
	;; [unrolled: 1-line block ×4, first 2 shown]
	ds_read2_b64 v[11:14], v11 offset0:124 offset1:187
	ds_read2_b64 v[15:18], v15 offset0:120 offset1:183
	;; [unrolled: 1-line block ×8, first 2 shown]
	s_waitcnt lgkmcnt(0)
	; wave barrier
	s_waitcnt lgkmcnt(0)
	ds_write2_b64 v39, v[60:61], v[7:8] offset1:1
	v_sub_f32_e32 v7, v5, v9
	v_sub_f32_e32 v8, v6, v10
	v_fma_f32 v5, v5, 2.0, -v7
	v_fma_f32 v6, v6, 2.0, -v8
	v_lshl_add_u32 v9, v38, 4, 0
	ds_write2_b64 v9, v[5:6], v[7:8] offset1:1
	v_sub_f32_e32 v5, v19, v23
	v_sub_f32_e32 v6, v20, v24
	v_fma_f32 v7, v19, 2.0, -v5
	v_fma_f32 v8, v20, 2.0, -v6
	v_lshl_add_u32 v9, v50, 4, 0
	ds_write2_b64 v9, v[7:8], v[5:6] offset1:1
	v_sub_f32_e32 v5, v21, v25
	v_sub_f32_e32 v6, v22, v26
	v_fma_f32 v7, v21, 2.0, -v5
	v_fma_f32 v8, v22, 2.0, -v6
	v_sub_f32_e32 v9, v11, v27
	v_sub_f32_e32 v10, v12, v28
	;; [unrolled: 1-line block ×8, first 2 shown]
	v_fma_f32 v11, v11, 2.0, -v9
	v_fma_f32 v12, v12, 2.0, -v10
	;; [unrolled: 1-line block ×8, first 2 shown]
	v_sub_f32_e32 v29, v15, v55
	v_sub_f32_e32 v32, v18, v58
	v_lshl_add_u32 v58, v49, 4, 0
	v_lshl_add_u32 v66, v48, 4, 0
	v_lshl_add_u32 v65, v45, 4, 0
	v_lshl_add_u32 v55, v47, 4, 0
	v_lshl_add_u32 v61, v44, 4, 0
	v_sub_f32_e32 v30, v16, v56
	v_sub_f32_e32 v31, v17, v57
	ds_write2_b64 v58, v[7:8], v[5:6] offset1:1
	ds_write2_b64 v66, v[11:12], v[9:10] offset1:1
	;; [unrolled: 1-line block ×5, first 2 shown]
	v_and_b32_e32 v27, 1, v38
	v_fma_f32 v15, v15, 2.0, -v29
	v_fma_f32 v16, v16, 2.0, -v30
	;; [unrolled: 1-line block ×4, first 2 shown]
	v_lshl_add_u32 v57, v43, 4, 0
	v_lshl_add_u32 v60, v42, 4, 0
	v_lshlrev_b32_e32 v5, 3, v27
	ds_write2_b64 v57, v[15:16], v[29:30] offset1:1
	ds_write2_b64 v60, v[17:18], v[31:32] offset1:1
	s_waitcnt lgkmcnt(0)
	; wave barrier
	s_waitcnt lgkmcnt(0)
	global_load_dwordx2 v[9:10], v5, s[8:9]
	v_and_b32_e32 v29, 1, v49
	v_and_b32_e32 v28, 1, v36
	v_lshlrev_b32_e32 v7, 3, v29
	v_and_b32_e32 v30, 1, v45
	v_lshlrev_b32_e32 v6, 3, v28
	v_lshlrev_b32_e32 v5, 3, v30
	global_load_dwordx2 v[11:12], v7, s[8:9]
	global_load_dwordx2 v[13:14], v5, s[8:9]
	;; [unrolled: 1-line block ×3, first 2 shown]
	v_and_b32_e32 v31, 1, v44
	v_lshlrev_b32_e32 v5, 3, v31
	global_load_dwordx2 v[17:18], v5, s[8:9]
	v_and_b32_e32 v32, 1, v42
	v_lshlrev_b32_e32 v5, 3, v32
	global_load_dwordx2 v[19:20], v5, s[8:9]
	ds_read2_b64 v[5:8], v0 offset0:118 offset1:181
	v_lshl_add_u32 v46, v38, 3, 0
	v_lshlrev_b32_e32 v67, 3, v49
	s_movk_i32 s2, 0x7c
	v_lshlrev_b32_e32 v84, 1, v36
	v_lshl_add_u32 v62, v50, 3, 0
	v_sub_u32_e32 v80, v58, v67
	v_lshlrev_b32_e32 v83, 3, v47
	v_lshlrev_b32_e32 v64, 3, v44
	;; [unrolled: 1-line block ×4, first 2 shown]
	v_and_or_b32 v84, v84, s2, v28
	v_lshlrev_b32_e32 v69, 3, v48
	v_lshlrev_b32_e32 v70, 3, v45
	v_sub_u32_e32 v23, v55, v83
	v_lshl_add_u32 v84, v84, 3, 0
	v_sub_u32_e32 v81, v66, v69
	v_sub_u32_e32 v82, v65, v70
	s_movk_i32 s2, 0xfc
	s_movk_i32 s3, 0x2fc
	v_cmp_gt_u32_e32 vcc, 42, v36
	s_waitcnt vmcnt(5) lgkmcnt(0)
	v_mul_f32_e32 v33, v10, v8
	v_fmac_f32_e32 v33, v9, v7
	v_mul_f32_e32 v7, v10, v7
	v_fma_f32 v34, v9, v8, -v7
	ds_read2_b64 v[7:10], v35 offset0:116 offset1:179
	s_waitcnt vmcnt(2)
	v_mul_f32_e32 v21, v16, v6
	v_fmac_f32_e32 v21, v15, v5
	v_mul_f32_e32 v5, v16, v5
	v_fma_f32 v22, v15, v6, -v5
	s_waitcnt lgkmcnt(0)
	v_mul_f32_e32 v35, v12, v10
	v_mul_f32_e32 v5, v12, v9
	v_fmac_f32_e32 v35, v11, v9
	v_fma_f32 v51, v11, v10, -v5
	ds_read2_b64 v[9:12], v1 offset0:114 offset1:177
	v_mul_f32_e32 v5, v16, v7
	v_mul_f32_e32 v52, v16, v8
	v_fma_f32 v53, v15, v8, -v5
	v_fmac_f32_e32 v52, v15, v7
	s_waitcnt lgkmcnt(0)
	v_mul_f32_e32 v5, v11, v14
	v_fma_f32 v56, v12, v13, -v5
	ds_read2_b64 v[5:8], v3 offset0:112 offset1:175
	v_mul_f32_e32 v63, v10, v16
	v_fmac_f32_e32 v63, v9, v15
	v_mul_f32_e32 v9, v9, v16
	v_fma_f32 v71, v10, v15, -v9
	s_waitcnt vmcnt(1) lgkmcnt(0)
	v_mul_f32_e32 v72, v8, v18
	v_fmac_f32_e32 v72, v7, v17
	v_mul_f32_e32 v7, v7, v18
	v_fma_f32 v73, v8, v17, -v7
	ds_read2_b64 v[7:10], v2 offset0:110 offset1:173
	v_mul_f32_e32 v74, v6, v16
	v_fmac_f32_e32 v74, v5, v15
	v_mul_f32_e32 v5, v5, v16
	v_fma_f32 v75, v6, v15, -v5
	s_waitcnt lgkmcnt(0)
	v_mul_f32_e32 v5, v7, v16
	v_fma_f32 v77, v8, v15, -v5
	s_waitcnt vmcnt(0)
	v_mul_f32_e32 v5, v9, v20
	v_fma_f32 v79, v10, v19, -v5
	ds_read_b64 v[5:6], v59
	v_mul_f32_e32 v54, v12, v14
	v_mul_f32_e32 v76, v8, v16
	;; [unrolled: 1-line block ×3, first 2 shown]
	v_fmac_f32_e32 v54, v11, v13
	v_fmac_f32_e32 v76, v7, v15
	;; [unrolled: 1-line block ×3, first 2 shown]
	ds_read_b64 v[7:8], v46
	ds_read_b64 v[9:10], v62
	;; [unrolled: 1-line block ×3, first 2 shown]
	s_waitcnt lgkmcnt(3)
	v_sub_f32_e32 v13, v5, v21
	v_sub_f32_e32 v14, v6, v22
	v_fma_f32 v5, v5, 2.0, -v13
	v_fma_f32 v6, v6, 2.0, -v14
	v_sub_u32_e32 v15, v61, v64
	v_sub_u32_e32 v17, v57, v68
	;; [unrolled: 1-line block ×3, first 2 shown]
	ds_read_b64 v[15:16], v15
	ds_read_b64 v[17:18], v17
	;; [unrolled: 1-line block ×6, first 2 shown]
	s_waitcnt lgkmcnt(0)
	; wave barrier
	s_waitcnt lgkmcnt(0)
	ds_write2_b64 v84, v[5:6], v[13:14] offset1:2
	v_lshlrev_b32_e32 v13, 1, v38
	v_sub_f32_e32 v5, v7, v33
	v_sub_f32_e32 v6, v8, v34
	v_and_or_b32 v13, v13, s2, v27
	v_fma_f32 v7, v7, 2.0, -v5
	v_fma_f32 v8, v8, 2.0, -v6
	v_lshl_add_u32 v13, v13, 3, 0
	ds_write2_b64 v13, v[7:8], v[5:6] offset1:2
	v_sub_f32_e32 v5, v9, v52
	v_fma_f32 v7, v9, 2.0, -v5
	s_movk_i32 s2, 0x1fc
	v_lshlrev_b32_e32 v9, 1, v50
	v_sub_f32_e32 v6, v10, v53
	v_and_or_b32 v9, v9, s2, v28
	v_fma_f32 v8, v10, 2.0, -v6
	v_lshl_add_u32 v9, v9, 3, 0
	ds_write2_b64 v9, v[7:8], v[5:6] offset1:2
	v_lshlrev_b32_e32 v9, 1, v49
	v_sub_f32_e32 v5, v11, v35
	v_sub_f32_e32 v6, v12, v51
	v_and_or_b32 v9, v9, s2, v29
	v_fma_f32 v7, v11, 2.0, -v5
	v_fma_f32 v8, v12, 2.0, -v6
	v_lshl_add_u32 v9, v9, 3, 0
	ds_write2_b64 v9, v[7:8], v[5:6] offset1:2
	s_movk_i32 s2, 0x3fc
	v_lshlrev_b32_e32 v9, 1, v48
	v_sub_f32_e32 v5, v21, v63
	v_sub_f32_e32 v6, v22, v71
	v_and_or_b32 v9, v9, s2, v28
	v_fma_f32 v7, v21, 2.0, -v5
	v_fma_f32 v8, v22, 2.0, -v6
	v_lshl_add_u32 v9, v9, 3, 0
	ds_write2_b64 v9, v[7:8], v[5:6] offset1:2
	v_lshlrev_b32_e32 v9, 1, v45
	v_sub_f32_e32 v5, v25, v54
	v_sub_f32_e32 v6, v26, v56
	v_and_or_b32 v9, v9, s3, v30
	v_fma_f32 v7, v25, 2.0, -v5
	v_fma_f32 v8, v26, 2.0, -v6
	v_lshl_add_u32 v9, v9, 3, 0
	ds_write2_b64 v9, v[7:8], v[5:6] offset1:2
	;; [unrolled: 8-line block ×4, first 2 shown]
	s_movk_i32 s2, 0x7fc
	v_lshlrev_b32_e32 v9, 1, v43
	v_sub_f32_e32 v5, v17, v76
	v_sub_f32_e32 v6, v18, v77
	v_and_or_b32 v9, v9, s2, v28
	v_fma_f32 v7, v17, 2.0, -v5
	v_fma_f32 v8, v18, 2.0, -v6
	v_lshl_add_u32 v9, v9, 3, 0
	ds_write2_b64 v9, v[7:8], v[5:6] offset1:2
	s_movk_i32 s2, 0x4fc
	v_lshlrev_b32_e32 v5, 1, v42
	v_sub_f32_e32 v26, v19, v78
	v_sub_f32_e32 v27, v20, v79
	v_and_or_b32 v5, v5, s2, v32
	v_fma_f32 v24, v19, 2.0, -v26
	v_fma_f32 v25, v20, 2.0, -v27
	v_lshl_add_u32 v5, v5, 3, 0
	ds_write2_b64 v5, v[24:25], v[26:27] offset1:2
	s_waitcnt lgkmcnt(0)
	; wave barrier
	s_waitcnt lgkmcnt(0)
	ds_read_b64 v[30:31], v81
	ds_read_b64 v[28:29], v82
	;; [unrolled: 1-line block ×6, first 2 shown]
	ds_read2_b64 v[20:23], v4 offset0:164 offset1:227
	ds_read2_b64 v[16:19], v1 offset0:72 offset1:135
	;; [unrolled: 1-line block ×6, first 2 shown]
	v_sub_u32_e32 v56, 0, v83
	v_add_u32_e32 v63, v55, v56
                                        ; implicit-def: $vgpr56
	s_and_saveexec_b64 s[2:3], vcc
	s_cbranch_execz .LBB0_15
; %bb.14:
	ds_read_b64 v[26:27], v59 offset:6384
	ds_read_b64 v[24:25], v63
	ds_read_b64 v[55:56], v59 offset:9744
.LBB0_15:
	s_or_b64 exec, exec, s[2:3]
	v_and_b32_e32 v97, 3, v36
	v_lshlrev_b32_e32 v71, 4, v97
	v_and_b32_e32 v98, 3, v38
	global_load_dwordx4 v[73:76], v71, s[8:9] offset:16
	v_lshlrev_b32_e32 v71, 4, v98
	v_and_b32_e32 v99, 3, v50
	global_load_dwordx4 v[77:80], v71, s[8:9] offset:16
	;; [unrolled: 3-line block ×4, first 2 shown]
	v_lshlrev_b32_e32 v71, 4, v101
	global_load_dwordx4 v[89:92], v71, s[8:9] offset:16
	v_and_b32_e32 v72, 3, v47
	v_lshlrev_b32_e32 v71, 4, v72
	global_load_dwordx4 v[93:96], v71, s[8:9] offset:16
	v_sub_u32_e32 v71, 0, v69
	v_sub_u32_e32 v69, 0, v70
	s_waitcnt lgkmcnt(0)
	; wave barrier
	s_waitcnt lgkmcnt(0)
	v_sub_u32_e32 v67, 0, v67
	s_waitcnt vmcnt(5)
	v_mul_f32_e32 v70, v74, v21
	v_mul_f32_e32 v103, v76, v17
	v_mul_f32_e32 v102, v74, v20
	v_mul_f32_e32 v104, v76, v16
	s_waitcnt vmcnt(4)
	v_mul_f32_e32 v105, v78, v23
	v_mul_f32_e32 v112, v1, v76
	;; [unrolled: 1-line block ×3, first 2 shown]
	v_fmac_f32_e32 v70, v73, v20
	v_fmac_f32_e32 v103, v75, v16
	v_mul_f32_e32 v78, v78, v22
	v_mul_f32_e32 v111, v5, v74
	s_waitcnt vmcnt(1)
	v_mul_f32_e32 v114, v3, v92
	v_fma_f32 v20, v73, v21, -v102
	v_fma_f32 v16, v75, v17, -v104
	v_fmac_f32_e32 v105, v77, v22
	v_fma_f32 v22, v1, v75, -v76
	v_add_f32_e32 v1, v70, v103
	v_mul_f32_e32 v106, v80, v19
	v_mul_f32_e32 v74, v4, v74
	;; [unrolled: 1-line block ×3, first 2 shown]
	v_fmac_f32_e32 v111, v4, v73
	v_fmac_f32_e32 v112, v0, v75
	v_fmac_f32_e32 v114, v2, v91
	v_add_f32_e32 v0, v53, v70
	v_add_f32_e32 v2, v54, v20
	v_add_f32_e32 v4, v20, v16
	v_fma_f32 v53, -0.5, v1, v53
	v_fmac_f32_e32 v106, v79, v18
	v_fma_f32 v21, v5, v73, -v74
	v_fma_f32 v73, v3, v91, -v92
	v_sub_f32_e32 v3, v20, v16
	v_add_f32_e32 v1, v2, v16
	v_mov_b32_e32 v2, v53
	v_fmac_f32_e32 v54, -0.5, v4
	v_mul_f32_e32 v80, v80, v18
	v_fmac_f32_e32 v53, 0x3f5db3d7, v3
	v_fmac_f32_e32 v2, 0xbf5db3d7, v3
	v_sub_f32_e32 v4, v70, v103
	v_mov_b32_e32 v3, v54
	v_add_f32_e32 v5, v105, v106
	v_mul_f32_e32 v113, v7, v90
	v_mul_f32_e32 v90, v6, v90
	v_fma_f32 v17, v77, v23, -v78
	v_fma_f32 v18, v79, v19, -v80
	v_fmac_f32_e32 v3, 0x3f5db3d7, v4
	v_fmac_f32_e32 v54, 0xbf5db3d7, v4
	v_add_f32_e32 v4, v51, v105
	v_fma_f32 v51, -0.5, v5, v51
	v_mul_f32_e32 v107, v82, v13
	v_mul_f32_e32 v108, v84, v9
	v_fmac_f32_e32 v113, v6, v89
	v_fma_f32 v23, v7, v89, -v90
	v_sub_f32_e32 v5, v17, v18
	v_mov_b32_e32 v6, v51
	v_add_f32_e32 v7, v17, v18
	v_mul_f32_e32 v82, v82, v12
	v_mul_f32_e32 v84, v84, v8
	v_fmac_f32_e32 v107, v81, v12
	v_fmac_f32_e32 v108, v83, v8
	;; [unrolled: 1-line block ×4, first 2 shown]
	v_add_f32_e32 v5, v52, v17
	v_fmac_f32_e32 v52, -0.5, v7
	v_fma_f32 v12, v81, v13, -v82
	v_fma_f32 v13, v83, v9, -v84
	v_sub_f32_e32 v8, v105, v106
	v_mov_b32_e32 v7, v52
	v_add_f32_e32 v9, v107, v108
	v_mul_f32_e32 v110, v11, v88
	v_mul_f32_e32 v88, v10, v88
	v_fmac_f32_e32 v7, 0x3f5db3d7, v8
	v_fmac_f32_e32 v52, 0xbf5db3d7, v8
	v_add_f32_e32 v8, v34, v107
	v_fma_f32 v34, -0.5, v9, v34
	v_mul_f32_e32 v109, v86, v15
	v_fmac_f32_e32 v110, v10, v87
	v_fma_f32 v19, v11, v87, -v88
	v_sub_f32_e32 v9, v12, v13
	v_mov_b32_e32 v10, v34
	v_add_f32_e32 v11, v12, v13
	v_fmac_f32_e32 v109, v85, v14
	v_fmac_f32_e32 v10, 0xbf5db3d7, v9
	;; [unrolled: 1-line block ×3, first 2 shown]
	v_add_f32_e32 v9, v35, v12
	v_fmac_f32_e32 v35, -0.5, v11
	v_mul_f32_e32 v86, v86, v14
	v_add_f32_e32 v9, v9, v13
	v_sub_f32_e32 v12, v107, v108
	v_mov_b32_e32 v11, v35
	v_add_f32_e32 v13, v109, v110
	v_fma_f32 v15, v85, v15, -v86
	v_fmac_f32_e32 v11, 0x3f5db3d7, v12
	v_fmac_f32_e32 v35, 0xbf5db3d7, v12
	v_add_f32_e32 v12, v32, v109
	v_fma_f32 v32, -0.5, v13, v32
	v_sub_f32_e32 v13, v15, v19
	v_mov_b32_e32 v14, v32
	v_fmac_f32_e32 v14, 0xbf5db3d7, v13
	v_fmac_f32_e32 v32, 0x3f5db3d7, v13
	v_add_f32_e32 v13, v33, v15
	v_add_f32_e32 v15, v15, v19
	v_fmac_f32_e32 v33, -0.5, v15
	v_sub_f32_e32 v16, v109, v110
	v_mov_b32_e32 v15, v33
	v_add_f32_e32 v17, v111, v112
	v_fmac_f32_e32 v15, 0x3f5db3d7, v16
	v_fmac_f32_e32 v33, 0xbf5db3d7, v16
	v_add_f32_e32 v16, v30, v111
	v_fma_f32 v30, -0.5, v17, v30
	v_add_f32_e32 v5, v5, v18
	v_add_f32_e32 v13, v13, v19
	v_sub_f32_e32 v17, v21, v22
	v_mov_b32_e32 v18, v30
	v_add_f32_e32 v19, v21, v22
	v_fmac_f32_e32 v18, 0xbf5db3d7, v17
	v_fmac_f32_e32 v30, 0x3f5db3d7, v17
	v_add_f32_e32 v17, v31, v21
	v_fmac_f32_e32 v31, -0.5, v19
	v_sub_f32_e32 v20, v111, v112
	v_mov_b32_e32 v19, v31
	v_add_f32_e32 v21, v113, v114
	v_fmac_f32_e32 v19, 0x3f5db3d7, v20
	v_fmac_f32_e32 v31, 0xbf5db3d7, v20
	v_add_f32_e32 v20, v28, v113
	v_fma_f32 v28, -0.5, v21, v28
	v_add_f32_e32 v17, v17, v22
	v_sub_f32_e32 v21, v23, v73
	v_mov_b32_e32 v22, v28
	s_waitcnt vmcnt(0)
	v_mul_f32_e32 v115, v27, v94
	v_mul_f32_e32 v116, v56, v96
	v_fmac_f32_e32 v22, 0xbf5db3d7, v21
	v_fmac_f32_e32 v28, 0x3f5db3d7, v21
	v_add_f32_e32 v21, v29, v23
	v_add_f32_e32 v23, v23, v73
	v_mul_f32_e32 v94, v26, v94
	v_fmac_f32_e32 v115, v26, v93
	v_fmac_f32_e32 v116, v55, v95
	v_fmac_f32_e32 v29, -0.5, v23
	v_mul_f32_e32 v96, v55, v96
	v_fma_f32 v74, v27, v93, -v94
	v_sub_f32_e32 v26, v113, v114
	v_mov_b32_e32 v23, v29
	v_add_f32_e32 v27, v115, v116
	v_fma_f32 v56, v56, v95, -v96
	v_fmac_f32_e32 v23, 0x3f5db3d7, v26
	v_fmac_f32_e32 v29, 0xbf5db3d7, v26
	v_add_f32_e32 v26, v24, v115
	v_fmac_f32_e32 v24, -0.5, v27
	v_sub_f32_e32 v27, v74, v56
	v_mov_b32_e32 v55, v24
	v_fmac_f32_e32 v55, 0xbf5db3d7, v27
	v_fmac_f32_e32 v24, 0x3f5db3d7, v27
	v_add_f32_e32 v27, v25, v74
	v_add_f32_e32 v27, v27, v56
	;; [unrolled: 1-line block ×3, first 2 shown]
	v_fmac_f32_e32 v25, -0.5, v56
	v_sub_f32_e32 v70, v115, v116
	v_mov_b32_e32 v56, v25
	v_fmac_f32_e32 v56, 0x3f5db3d7, v70
	v_fmac_f32_e32 v25, 0xbf5db3d7, v70
	v_lshrrev_b32_e32 v70, 2, v36
	v_mul_u32_u24_e32 v70, 12, v70
	v_add_f32_e32 v21, v21, v73
	v_or_b32_e32 v70, v70, v97
	v_lshrrev_b32_e32 v73, 2, v38
	v_add_f32_e32 v0, v0, v103
	v_mul_lo_u32 v73, v73, 12
	v_lshl_add_u32 v70, v70, 3, 0
	ds_write2_b64 v70, v[0:1], v[2:3] offset1:4
	ds_write_b64 v70, v[53:54] offset:64
	v_lshrrev_b32_e32 v1, 2, v50
	v_mul_lo_u32 v1, v1, 12
	v_or_b32_e32 v0, v73, v98
	v_add_f32_e32 v4, v4, v106
	v_lshl_add_u32 v0, v0, 3, 0
	ds_write2_b64 v0, v[4:5], v[6:7] offset1:4
	ds_write_b64 v0, v[51:52] offset:64
	v_or_b32_e32 v0, v1, v99
	v_lshrrev_b32_e32 v1, 2, v49
	v_mul_lo_u32 v1, v1, 12
	v_add_f32_e32 v8, v8, v108
	v_lshl_add_u32 v0, v0, 3, 0
	ds_write2_b64 v0, v[8:9], v[10:11] offset1:4
	ds_write_b64 v0, v[34:35] offset:64
	v_or_b32_e32 v0, v1, v100
	v_lshrrev_b32_e32 v1, 2, v48
	v_mul_lo_u32 v1, v1, 12
	v_add_f32_e32 v12, v12, v110
	v_lshl_add_u32 v0, v0, 3, 0
	ds_write2_b64 v0, v[12:13], v[14:15] offset1:4
	ds_write_b64 v0, v[32:33] offset:64
	v_or_b32_e32 v0, v1, v97
	v_lshrrev_b32_e32 v1, 2, v45
	v_mul_lo_u32 v1, v1, 12
	v_add_f32_e32 v16, v16, v112
	v_lshl_add_u32 v0, v0, 3, 0
	ds_write2_b64 v0, v[16:17], v[18:19] offset1:4
	ds_write_b64 v0, v[30:31] offset:64
	v_or_b32_e32 v0, v1, v101
	v_add_f32_e32 v20, v20, v114
	v_add_f32_e32 v26, v26, v116
	v_lshl_add_u32 v0, v0, 3, 0
	ds_write2_b64 v0, v[20:21], v[22:23] offset1:4
	ds_write_b64 v0, v[28:29] offset:64
	s_and_saveexec_b64 s[2:3], vcc
	s_cbranch_execz .LBB0_17
; %bb.16:
	v_lshrrev_b32_e32 v0, 2, v47
	v_mul_lo_u32 v0, v0, 12
	v_or_b32_e32 v0, v0, v72
	v_lshl_add_u32 v0, v0, 3, 0
	ds_write2_b64 v0, v[26:27], v[55:56] offset1:4
	ds_write_b64 v0, v[24:25] offset:64
.LBB0_17:
	s_or_b64 exec, exec, s[2:3]
	v_add_u32_e32 v0, 0x800, v59
	v_add_u32_e32 v4, 0x1800, v59
	;; [unrolled: 1-line block ×4, first 2 shown]
	s_waitcnt lgkmcnt(0)
	; wave barrier
	s_waitcnt lgkmcnt(0)
	ds_read2_b64 v[0:3], v0 offset0:164 offset1:227
	ds_read2_b64 v[8:11], v4 offset0:72 offset1:135
	;; [unrolled: 1-line block ×4, first 2 shown]
	v_add_u32_e32 v67, v58, v67
	ds_read_b64 v[53:54], v59
	ds_read_b64 v[51:52], v46
	;; [unrolled: 1-line block ×4, first 2 shown]
	v_add_u32_e32 v66, v66, v71
	v_add_u32_e32 v20, 0x2000, v59
	ds_read2_b64 v[16:19], v16 offset0:160 offset1:223
	ds_read2_b64 v[20:23], v20 offset0:68 offset1:131
	v_add_u32_e32 v65, v65, v69
	ds_read_b64 v[30:31], v66
	ds_read_b64 v[28:29], v65
	s_and_saveexec_b64 s[2:3], vcc
	s_cbranch_execz .LBB0_19
; %bb.18:
	ds_read_b64 v[55:56], v59 offset:6384
	ds_read_b64 v[26:27], v63
	ds_read_b64 v[24:25], v59 offset:9744
.LBB0_19:
	s_or_b64 exec, exec, s[2:3]
	s_movk_i32 s2, 0xab
	v_mul_lo_u16_sdwa v58, v36, s2 dst_sel:DWORD dst_unused:UNUSED_PAD src0_sel:BYTE_0 src1_sel:DWORD
	v_lshrrev_b16_e32 v99, 11, v58
	v_mul_lo_u16_sdwa v70, v38, s2 dst_sel:DWORD dst_unused:UNUSED_PAD src0_sel:BYTE_0 src1_sel:DWORD
	v_mul_lo_u16_e32 v58, 12, v99
	v_lshrrev_b16_e32 v101, 11, v70
	v_sub_u16_e32 v100, v36, v58
	v_mov_b32_e32 v58, 4
	v_mul_lo_u16_e32 v70, 12, v101
	v_lshlrev_b32_sdwa v69, v58, v100 dst_sel:DWORD dst_unused:UNUSED_PAD src0_sel:DWORD src1_sel:BYTE_0
	v_sub_u16_e32 v102, v38, v70
	v_lshlrev_b32_sdwa v70, v58, v102 dst_sel:DWORD dst_unused:UNUSED_PAD src0_sel:DWORD src1_sel:BYTE_0
	global_load_dwordx4 v[71:74], v69, s[8:9] offset:80
	global_load_dwordx4 v[75:78], v70, s[8:9] offset:80
	v_mul_lo_u16_sdwa v69, v50, s2 dst_sel:DWORD dst_unused:UNUSED_PAD src0_sel:BYTE_0 src1_sel:DWORD
	v_lshrrev_b16_e32 v103, 11, v69
	v_mul_lo_u16_sdwa v70, v49, s2 dst_sel:DWORD dst_unused:UNUSED_PAD src0_sel:BYTE_0 src1_sel:DWORD
	v_mul_lo_u16_e32 v69, 12, v103
	v_lshrrev_b16_e32 v105, 11, v70
	v_sub_u16_e32 v104, v50, v69
	v_mul_lo_u16_e32 v70, 12, v105
	v_lshlrev_b32_sdwa v69, v58, v104 dst_sel:DWORD dst_unused:UNUSED_PAD src0_sel:DWORD src1_sel:BYTE_0
	v_sub_u16_e32 v106, v49, v70
	v_lshlrev_b32_sdwa v58, v58, v106 dst_sel:DWORD dst_unused:UNUSED_PAD src0_sel:DWORD src1_sel:BYTE_0
	global_load_dwordx4 v[79:82], v69, s[8:9] offset:80
	global_load_dwordx4 v[83:86], v58, s[8:9] offset:80
	s_mov_b32 s2, 0xaaab
	v_mul_u32_u24_sdwa v58, v48, s2 dst_sel:DWORD dst_unused:UNUSED_PAD src0_sel:WORD_0 src1_sel:DWORD
	v_lshrrev_b32_e32 v107, 19, v58
	v_mul_lo_u16_e32 v58, 12, v107
	v_sub_u16_e32 v108, v48, v58
	v_mul_u32_u24_sdwa v69, v45, s2 dst_sel:DWORD dst_unused:UNUSED_PAD src0_sel:WORD_0 src1_sel:DWORD
	v_lshlrev_b32_e32 v58, 4, v108
	v_lshrrev_b32_e32 v109, 19, v69
	global_load_dwordx4 v[87:90], v58, s[8:9] offset:80
	v_mul_lo_u16_e32 v58, 12, v109
	v_sub_u16_e32 v110, v45, v58
	v_lshlrev_b32_e32 v58, 4, v110
	global_load_dwordx4 v[91:94], v58, s[8:9] offset:80
	v_mul_u32_u24_sdwa v58, v47, s2 dst_sel:DWORD dst_unused:UNUSED_PAD src0_sel:WORD_0 src1_sel:DWORD
	v_lshrrev_b32_e32 v69, 19, v58
	v_mul_lo_u16_e32 v58, 12, v69
	v_sub_u16_e32 v70, v47, v58
	v_lshlrev_b32_e32 v58, 4, v70
	global_load_dwordx4 v[95:98], v58, s[8:9] offset:80
	v_sub_u32_e32 v58, 0, v68
	s_waitcnt lgkmcnt(0)
	; wave barrier
	s_waitcnt vmcnt(6) lgkmcnt(0)
	v_mul_f32_e32 v68, v72, v1
	v_mul_f32_e32 v111, v74, v9
	s_waitcnt vmcnt(5)
	v_mul_f32_e32 v112, v76, v3
	v_mul_f32_e32 v76, v76, v2
	v_mul_f32_e32 v113, v78, v11
	v_mul_f32_e32 v78, v78, v10
	v_fmac_f32_e32 v68, v71, v0
	v_fmac_f32_e32 v111, v73, v8
	v_mul_f32_e32 v72, v72, v0
	v_mul_f32_e32 v74, v74, v8
	v_fmac_f32_e32 v112, v75, v2
	v_fma_f32 v2, v75, v3, -v76
	v_fma_f32 v3, v77, v11, -v78
	v_add_f32_e32 v11, v68, v111
	s_waitcnt vmcnt(4)
	v_mul_f32_e32 v115, v82, v13
	v_mul_f32_e32 v82, v82, v12
	v_fma_f32 v71, v71, v1, -v72
	v_fma_f32 v8, v73, v9, -v74
	v_fmac_f32_e32 v113, v77, v10
	v_add_f32_e32 v10, v53, v68
	v_fma_f32 v53, -0.5, v11, v53
	v_fmac_f32_e32 v115, v81, v12
	v_fma_f32 v12, v81, v13, -v82
	v_sub_f32_e32 v11, v71, v8
	v_mov_b32_e32 v13, v53
	v_fmac_f32_e32 v13, 0xbf5db3d7, v11
	v_fmac_f32_e32 v53, 0x3f5db3d7, v11
	v_add_f32_e32 v11, v54, v71
	v_add_f32_e32 v11, v11, v8
	;; [unrolled: 1-line block ×3, first 2 shown]
	s_waitcnt vmcnt(3)
	v_mul_f32_e32 v117, v15, v86
	v_fmac_f32_e32 v54, -0.5, v8
	v_mul_f32_e32 v86, v14, v86
	v_fmac_f32_e32 v117, v14, v85
	v_sub_f32_e32 v8, v68, v111
	v_mov_b32_e32 v14, v54
	v_mul_f32_e32 v116, v84, v7
	v_mul_f32_e32 v84, v84, v6
	v_fmac_f32_e32 v14, 0x3f5db3d7, v8
	v_fmac_f32_e32 v54, 0xbf5db3d7, v8
	v_add_f32_e32 v8, v51, v112
	v_fmac_f32_e32 v116, v83, v6
	v_fma_f32 v6, v83, v7, -v84
	v_fma_f32 v7, v15, v85, -v86
	v_add_f32_e32 v15, v8, v113
	v_add_f32_e32 v8, v112, v113
	s_waitcnt vmcnt(2)
	v_mul_f32_e32 v118, v17, v88
	v_mul_f32_e32 v88, v16, v88
	v_fma_f32 v51, -0.5, v8, v51
	v_fma_f32 v74, v17, v87, -v88
	v_sub_f32_e32 v8, v2, v3
	v_mov_b32_e32 v17, v51
	v_fmac_f32_e32 v17, 0xbf5db3d7, v8
	v_fmac_f32_e32 v51, 0x3f5db3d7, v8
	v_add_f32_e32 v8, v52, v2
	v_add_f32_e32 v2, v2, v3
	v_mul_f32_e32 v114, v80, v5
	s_waitcnt vmcnt(1)
	v_mul_f32_e32 v120, v19, v92
	v_fmac_f32_e32 v52, -0.5, v2
	v_fmac_f32_e32 v114, v79, v4
	v_fmac_f32_e32 v120, v18, v91
	v_mul_f32_e32 v0, v18, v92
	v_sub_f32_e32 v2, v112, v113
	v_mov_b32_e32 v18, v52
	v_fmac_f32_e32 v18, 0x3f5db3d7, v2
	v_fmac_f32_e32 v52, 0xbf5db3d7, v2
	v_add_f32_e32 v2, v34, v114
	v_mul_f32_e32 v80, v80, v4
	v_fma_f32 v78, v19, v91, -v0
	v_add_f32_e32 v19, v2, v115
	v_add_f32_e32 v2, v114, v115
	v_mul_f32_e32 v119, v21, v90
	v_mul_f32_e32 v90, v20, v90
	v_fma_f32 v9, v79, v5, -v80
	v_fma_f32 v34, -0.5, v2, v34
	v_fma_f32 v75, v21, v89, -v90
	v_sub_f32_e32 v2, v9, v12
	v_mov_b32_e32 v21, v34
	v_fmac_f32_e32 v21, 0xbf5db3d7, v2
	v_fmac_f32_e32 v34, 0x3f5db3d7, v2
	v_add_f32_e32 v2, v35, v9
	v_fmac_f32_e32 v119, v20, v89
	v_add_f32_e32 v20, v2, v12
	v_add_f32_e32 v2, v9, v12
	v_mul_f32_e32 v79, v23, v94
	v_fmac_f32_e32 v35, -0.5, v2
	v_fmac_f32_e32 v79, v22, v93
	v_mul_f32_e32 v0, v22, v94
	v_sub_f32_e32 v2, v114, v115
	v_mov_b32_e32 v22, v35
	v_fmac_f32_e32 v22, 0x3f5db3d7, v2
	v_fmac_f32_e32 v35, 0xbf5db3d7, v2
	v_add_f32_e32 v2, v32, v116
	v_fma_f32 v80, v23, v93, -v0
	v_add_f32_e32 v23, v2, v117
	v_add_f32_e32 v2, v116, v117
	s_waitcnt vmcnt(0)
	v_mul_f32_e32 v0, v56, v96
	v_fma_f32 v32, -0.5, v2, v32
	v_fmac_f32_e32 v0, v55, v95
	v_mul_f32_e32 v1, v55, v96
	v_sub_f32_e32 v2, v6, v7
	v_mov_b32_e32 v55, v32
	v_fma_f32 v4, v56, v95, -v1
	v_mul_f32_e32 v1, v25, v98
	v_fmac_f32_e32 v55, 0xbf5db3d7, v2
	v_fmac_f32_e32 v32, 0x3f5db3d7, v2
	v_add_f32_e32 v2, v33, v6
	v_fmac_f32_e32 v1, v24, v97
	v_mul_f32_e32 v5, v24, v98
	v_add_f32_e32 v24, v2, v7
	v_add_f32_e32 v2, v6, v7
	v_fmac_f32_e32 v33, -0.5, v2
	v_fmac_f32_e32 v118, v16, v87
	v_sub_f32_e32 v2, v116, v117
	v_mov_b32_e32 v56, v33
	v_fmac_f32_e32 v56, 0x3f5db3d7, v2
	v_fmac_f32_e32 v33, 0xbf5db3d7, v2
	v_add_f32_e32 v2, v30, v118
	v_add_f32_e32 v71, v2, v119
	;; [unrolled: 1-line block ×3, first 2 shown]
	v_fma_f32 v30, -0.5, v2, v30
	v_sub_f32_e32 v2, v74, v75
	v_mov_b32_e32 v73, v30
	v_fmac_f32_e32 v73, 0xbf5db3d7, v2
	v_fmac_f32_e32 v30, 0x3f5db3d7, v2
	v_add_f32_e32 v2, v31, v74
	v_add_f32_e32 v72, v2, v75
	;; [unrolled: 1-line block ×3, first 2 shown]
	v_fmac_f32_e32 v31, -0.5, v2
	v_sub_f32_e32 v2, v118, v119
	v_mov_b32_e32 v74, v31
	v_mov_b32_e32 v12, 3
	v_fma_f32 v5, v25, v97, -v5
	v_fmac_f32_e32 v74, 0x3f5db3d7, v2
	v_fmac_f32_e32 v31, 0xbf5db3d7, v2
	v_add_f32_e32 v2, v28, v120
	v_mul_u32_u24_e32 v25, 0x120, v99
	v_lshlrev_b32_sdwa v68, v12, v100 dst_sel:DWORD dst_unused:UNUSED_PAD src0_sel:DWORD src1_sel:BYTE_0
	v_add_f32_e32 v10, v10, v111
	v_add_f32_e32 v75, v2, v79
	;; [unrolled: 1-line block ×3, first 2 shown]
	v_add3_u32 v25, 0, v25, v68
	v_fma_f32 v28, -0.5, v2, v28
	ds_write2_b64 v25, v[10:11], v[13:14] offset1:12
	ds_write_b64 v25, v[53:54] offset:192
	v_mul_u32_u24_e32 v10, 0x120, v101
	v_lshlrev_b32_sdwa v11, v12, v102 dst_sel:DWORD dst_unused:UNUSED_PAD src0_sel:DWORD src1_sel:BYTE_0
	v_add_f32_e32 v16, v8, v3
	v_sub_f32_e32 v2, v78, v80
	v_mov_b32_e32 v77, v28
	v_add3_u32 v10, 0, v10, v11
	v_fmac_f32_e32 v77, 0xbf5db3d7, v2
	v_fmac_f32_e32 v28, 0x3f5db3d7, v2
	v_add_f32_e32 v2, v29, v78
	ds_write2_b64 v10, v[15:16], v[17:18] offset1:12
	ds_write_b64 v10, v[51:52] offset:192
	v_mul_u32_u24_e32 v10, 0x120, v103
	v_lshlrev_b32_sdwa v11, v12, v104 dst_sel:DWORD dst_unused:UNUSED_PAD src0_sel:DWORD src1_sel:BYTE_0
	v_add_f32_e32 v76, v2, v80
	v_add_f32_e32 v2, v78, v80
	v_add3_u32 v10, 0, v10, v11
	v_fmac_f32_e32 v29, -0.5, v2
	ds_write2_b64 v10, v[19:20], v[21:22] offset1:12
	ds_write_b64 v10, v[34:35] offset:192
	v_mul_u32_u24_e32 v10, 0x120, v105
	v_lshlrev_b32_sdwa v11, v12, v106 dst_sel:DWORD dst_unused:UNUSED_PAD src0_sel:DWORD src1_sel:BYTE_0
	v_sub_f32_e32 v2, v120, v79
	v_mov_b32_e32 v78, v29
	v_add3_u32 v10, 0, v10, v11
	v_fmac_f32_e32 v78, 0x3f5db3d7, v2
	v_fmac_f32_e32 v29, 0xbf5db3d7, v2
	v_add_f32_e32 v2, v0, v1
	v_add_f32_e32 v3, v4, v5
	ds_write2_b64 v10, v[23:24], v[55:56] offset1:12
	ds_write_b64 v10, v[32:33] offset:192
	v_mul_u32_u24_e32 v10, 0x120, v107
	v_lshlrev_b32_e32 v11, 3, v108
	v_fma_f32 v6, -0.5, v2, v26
	v_fma_f32 v7, -0.5, v3, v27
	v_add3_u32 v10, 0, v10, v11
	v_sub_f32_e32 v8, v4, v5
	v_mov_b32_e32 v2, v6
	v_sub_f32_e32 v9, v0, v1
	v_mov_b32_e32 v3, v7
	ds_write2_b64 v10, v[71:72], v[73:74] offset1:12
	ds_write_b64 v10, v[30:31] offset:192
	v_mul_u32_u24_e32 v10, 0x120, v109
	v_lshlrev_b32_e32 v11, 3, v110
	v_fmac_f32_e32 v2, 0x3f5db3d7, v8
	v_fmac_f32_e32 v3, 0xbf5db3d7, v9
	v_add3_u32 v10, 0, v10, v11
	ds_write2_b64 v10, v[75:76], v[77:78] offset1:12
	ds_write_b64 v10, v[28:29] offset:192
	s_and_saveexec_b64 s[2:3], vcc
	s_cbranch_execz .LBB0_21
; %bb.20:
	v_mul_f32_e32 v8, 0x3f5db3d7, v8
	v_add_f32_e32 v4, v27, v4
	v_add_f32_e32 v0, v26, v0
	v_mul_f32_e32 v9, 0x3f5db3d7, v9
	v_add_f32_e32 v5, v4, v5
	v_add_f32_e32 v4, v0, v1
	v_sub_f32_e32 v0, v6, v8
	v_mul_lo_u16_e32 v6, 36, v69
	v_add_f32_e32 v1, v9, v7
	v_lshlrev_b32_e32 v7, 3, v70
	v_lshlrev_b32_e32 v6, 3, v6
	v_add3_u32 v6, 0, v7, v6
	ds_write2_b64 v6, v[4:5], v[0:1] offset1:12
	ds_write_b64 v6, v[2:3] offset:192
.LBB0_21:
	s_or_b64 exec, exec, s[2:3]
	v_subrev_u32_e32 v0, 36, v36
	v_cmp_gt_u32_e32 vcc, 36, v36
	v_cndmask_b32_e32 v13, v0, v36, vcc
	v_lshlrev_b32_e32 v53, 2, v13
	v_mov_b32_e32 v54, 0
	v_lshlrev_b64 v[0:1], 3, v[53:54]
	v_mov_b32_e32 v4, s9
	v_add_co_u32_e32 v0, vcc, s8, v0
	v_addc_co_u32_e32 v1, vcc, v4, v1, vcc
	s_waitcnt lgkmcnt(0)
	; wave barrier
	s_waitcnt lgkmcnt(0)
	global_load_dwordx4 v[8:11], v[0:1], off offset:288
	global_load_dwordx4 v[14:17], v[0:1], off offset:272
	v_mov_b32_e32 v0, 57
	v_mul_lo_u16_sdwa v1, v38, v0 dst_sel:DWORD dst_unused:UNUSED_PAD src0_sel:BYTE_0 src1_sel:DWORD
	v_lshrrev_b16_e32 v107, 11, v1
	v_mul_lo_u16_e32 v1, 36, v107
	v_sub_u16_e32 v108, v38, v1
	v_mov_b32_e32 v1, 5
	v_lshlrev_b32_sdwa v4, v1, v108 dst_sel:DWORD dst_unused:UNUSED_PAD src0_sel:DWORD src1_sel:BYTE_0
	global_load_dwordx4 v[18:21], v4, s[8:9] offset:272
	global_load_dwordx4 v[22:25], v4, s[8:9] offset:288
	v_mul_lo_u16_sdwa v4, v50, v0 dst_sel:DWORD dst_unused:UNUSED_PAD src0_sel:BYTE_0 src1_sel:DWORD
	v_lshrrev_b16_e32 v109, 11, v4
	v_mul_lo_u16_e32 v4, 36, v109
	v_sub_u16_e32 v110, v50, v4
	v_lshlrev_b32_sdwa v4, v1, v110 dst_sel:DWORD dst_unused:UNUSED_PAD src0_sel:DWORD src1_sel:BYTE_0
	v_mul_lo_u16_sdwa v0, v49, v0 dst_sel:DWORD dst_unused:UNUSED_PAD src0_sel:BYTE_0 src1_sel:DWORD
	global_load_dwordx4 v[26:29], v4, s[8:9] offset:272
	global_load_dwordx4 v[30:33], v4, s[8:9] offset:288
	v_lshrrev_b16_e32 v111, 11, v0
	v_mul_lo_u16_e32 v0, 36, v111
	v_sub_u16_e32 v112, v49, v0
	v_lshlrev_b32_sdwa v0, v1, v112 dst_sel:DWORD dst_unused:UNUSED_PAD src0_sel:DWORD src1_sel:BYTE_0
	global_load_dwordx4 v[71:74], v0, s[8:9] offset:272
	global_load_dwordx4 v[75:78], v0, s[8:9] offset:288
	v_add_u32_e32 v68, v57, v58
	v_add_u32_e32 v69, 0x1400, v59
	;; [unrolled: 1-line block ×8, first 2 shown]
	ds_read_b64 v[34:35], v59
	ds_read_b64 v[103:104], v46
	;; [unrolled: 1-line block ×6, first 2 shown]
	ds_read2_b64 v[55:58], v69 offset0:116 offset1:179
	ds_read2_b64 v[79:82], v113 offset0:112 offset1:175
	;; [unrolled: 1-line block ×7, first 2 shown]
	v_cmp_lt_u32_e32 vcc, 35, v36
	v_lshlrev_b32_e32 v13, 3, v13
	s_waitcnt lgkmcnt(0)
	; wave barrier
	s_waitcnt vmcnt(7) lgkmcnt(0)
	v_mul_f32_e32 v117, v9, v56
	s_waitcnt vmcnt(6)
	v_mul_f32_e32 v51, v15, v1
	v_mul_f32_e32 v15, v15, v0
	v_mul_f32_e32 v52, v17, v5
	v_fmac_f32_e32 v51, v14, v0
	v_fma_f32 v0, v14, v1, -v15
	v_mul_f32_e32 v118, v11, v80
	v_fmac_f32_e32 v52, v16, v4
	v_fmac_f32_e32 v117, v8, v55
	s_waitcnt vmcnt(4)
	v_mul_f32_e32 v121, v58, v23
	v_mul_f32_e32 v23, v57, v23
	v_fmac_f32_e32 v121, v57, v22
	v_mul_f32_e32 v17, v17, v4
	v_mul_f32_e32 v11, v11, v79
	;; [unrolled: 1-line block ×3, first 2 shown]
	s_waitcnt vmcnt(3)
	v_mul_f32_e32 v14, v85, v27
	v_fma_f32 v57, v86, v26, -v14
	v_mul_f32_e32 v14, v91, v29
	v_fmac_f32_e32 v118, v10, v79
	v_fma_f32 v79, v92, v28, -v14
	s_waitcnt vmcnt(2)
	v_mul_f32_e32 v14, v95, v31
	v_add_f32_e32 v15, v52, v117
	v_mul_f32_e32 v9, v9, v55
	v_mul_f32_e32 v119, v84, v19
	;; [unrolled: 1-line block ×3, first 2 shown]
	v_fma_f32 v1, v16, v5, -v17
	v_fma_f32 v5, v10, v80, -v11
	v_fmac_f32_e32 v122, v81, v24
	v_mul_f32_e32 v11, v81, v25
	v_fma_f32 v81, v96, v30, -v14
	v_mul_f32_e32 v14, v99, v33
	v_fma_f32 v16, -0.5, v15, v34
	v_mul_f32_e32 v120, v90, v21
	v_mul_f32_e32 v21, v89, v21
	v_fma_f32 v4, v8, v56, -v9
	v_fmac_f32_e32 v119, v83, v18
	v_fma_f32 v8, v84, v18, -v19
	v_fma_f32 v83, v100, v32, -v14
	s_waitcnt vmcnt(1)
	v_mul_f32_e32 v84, v88, v72
	v_mul_f32_e32 v14, v87, v72
	v_sub_f32_e32 v15, v0, v5
	v_mov_b32_e32 v18, v16
	v_fmac_f32_e32 v120, v89, v20
	v_fma_f32 v9, v90, v20, -v21
	v_fmac_f32_e32 v84, v87, v71
	v_fma_f32 v71, v88, v71, -v14
	v_mul_f32_e32 v72, v94, v74
	v_mul_f32_e32 v14, v93, v74
	v_fmac_f32_e32 v18, 0xbf737871, v15
	v_sub_f32_e32 v17, v1, v4
	v_sub_f32_e32 v19, v51, v52
	;; [unrolled: 1-line block ×3, first 2 shown]
	v_fmac_f32_e32 v16, 0x3f737871, v15
	v_fmac_f32_e32 v72, v93, v73
	v_fma_f32 v73, v94, v73, -v14
	s_waitcnt vmcnt(0)
	v_mul_f32_e32 v74, v98, v76
	v_mul_f32_e32 v14, v97, v76
	v_fmac_f32_e32 v18, 0xbf167918, v17
	v_add_f32_e32 v19, v19, v20
	v_fmac_f32_e32 v16, 0x3f167918, v17
	v_fmac_f32_e32 v74, v97, v75
	v_fma_f32 v75, v98, v75, -v14
	v_mul_f32_e32 v76, v102, v78
	v_mul_f32_e32 v14, v101, v78
	v_fmac_f32_e32 v18, 0x3e9e377a, v19
	v_fmac_f32_e32 v16, 0x3e9e377a, v19
	v_add_f32_e32 v19, v51, v118
	v_fmac_f32_e32 v76, v101, v77
	v_fma_f32 v77, v102, v77, -v14
	v_add_f32_e32 v14, v34, v51
	v_fma_f32 v34, -0.5, v19, v34
	v_mov_b32_e32 v20, v34
	v_fmac_f32_e32 v20, 0x3f737871, v17
	v_sub_f32_e32 v19, v52, v51
	v_sub_f32_e32 v21, v117, v118
	v_fmac_f32_e32 v34, 0xbf737871, v17
	v_add_f32_e32 v17, v1, v4
	v_fmac_f32_e32 v20, 0xbf167918, v15
	v_add_f32_e32 v19, v19, v21
	v_fmac_f32_e32 v34, 0x3f167918, v15
	v_fma_f32 v17, -0.5, v17, v35
	v_fma_f32 v10, v58, v22, -v23
	v_fmac_f32_e32 v20, 0x3e9e377a, v19
	v_fmac_f32_e32 v34, 0x3e9e377a, v19
	v_sub_f32_e32 v22, v51, v118
	v_mov_b32_e32 v19, v17
	v_fma_f32 v11, v82, v24, -v11
	v_fmac_f32_e32 v19, 0x3f737871, v22
	v_sub_f32_e32 v23, v52, v117
	v_sub_f32_e32 v21, v0, v1
	;; [unrolled: 1-line block ×3, first 2 shown]
	v_fmac_f32_e32 v17, 0xbf737871, v22
	v_fmac_f32_e32 v19, 0x3f167918, v23
	v_add_f32_e32 v21, v21, v24
	v_fmac_f32_e32 v17, 0xbf167918, v23
	v_fmac_f32_e32 v19, 0x3e9e377a, v21
	;; [unrolled: 1-line block ×3, first 2 shown]
	v_add_f32_e32 v21, v0, v5
	v_add_f32_e32 v15, v35, v0
	v_fmac_f32_e32 v35, -0.5, v21
	v_mov_b32_e32 v21, v35
	v_add_f32_e32 v15, v15, v1
	v_fmac_f32_e32 v21, 0xbf737871, v23
	v_sub_f32_e32 v0, v1, v0
	v_sub_f32_e32 v1, v4, v5
	v_fmac_f32_e32 v35, 0x3f737871, v23
	v_fmac_f32_e32 v21, 0x3f167918, v22
	v_add_f32_e32 v0, v0, v1
	v_fmac_f32_e32 v35, 0xbf167918, v22
	v_fmac_f32_e32 v21, 0x3e9e377a, v0
	;; [unrolled: 1-line block ×3, first 2 shown]
	v_add_f32_e32 v0, v103, v119
	v_add_f32_e32 v0, v0, v120
	;; [unrolled: 1-line block ×5, first 2 shown]
	v_mul_f32_e32 v56, v86, v27
	v_fma_f32 v24, -0.5, v0, v103
	v_fmac_f32_e32 v56, v85, v26
	v_add_f32_e32 v15, v15, v4
	v_sub_f32_e32 v0, v8, v11
	v_mov_b32_e32 v26, v24
	v_add_f32_e32 v15, v15, v5
	v_fmac_f32_e32 v26, 0xbf737871, v0
	v_sub_f32_e32 v1, v9, v10
	v_sub_f32_e32 v4, v119, v120
	;; [unrolled: 1-line block ×3, first 2 shown]
	v_fmac_f32_e32 v24, 0x3f737871, v0
	v_fmac_f32_e32 v26, 0xbf167918, v1
	v_add_f32_e32 v4, v4, v5
	v_fmac_f32_e32 v24, 0x3f167918, v1
	v_fmac_f32_e32 v26, 0x3e9e377a, v4
	v_fmac_f32_e32 v24, 0x3e9e377a, v4
	v_add_f32_e32 v4, v119, v122
	v_mul_f32_e32 v58, v92, v29
	v_fma_f32 v103, -0.5, v4, v103
	v_fmac_f32_e32 v58, v91, v28
	v_mov_b32_e32 v28, v103
	v_fmac_f32_e32 v28, 0x3f737871, v1
	v_fmac_f32_e32 v103, 0xbf737871, v1
	;; [unrolled: 1-line block ×4, first 2 shown]
	v_add_f32_e32 v0, v104, v8
	v_add_f32_e32 v0, v0, v9
	;; [unrolled: 1-line block ×5, first 2 shown]
	v_sub_f32_e32 v4, v120, v119
	v_sub_f32_e32 v5, v121, v122
	v_fma_f32 v25, -0.5, v0, v104
	v_add_f32_e32 v4, v4, v5
	v_sub_f32_e32 v0, v119, v122
	v_mov_b32_e32 v27, v25
	v_fmac_f32_e32 v28, 0x3e9e377a, v4
	v_fmac_f32_e32 v103, 0x3e9e377a, v4
	;; [unrolled: 1-line block ×3, first 2 shown]
	v_sub_f32_e32 v1, v120, v121
	v_sub_f32_e32 v4, v8, v9
	;; [unrolled: 1-line block ×3, first 2 shown]
	v_fmac_f32_e32 v25, 0xbf737871, v0
	v_fmac_f32_e32 v27, 0x3f167918, v1
	v_add_f32_e32 v4, v4, v5
	v_fmac_f32_e32 v25, 0xbf167918, v1
	v_fmac_f32_e32 v27, 0x3e9e377a, v4
	;; [unrolled: 1-line block ×3, first 2 shown]
	v_add_f32_e32 v4, v8, v11
	v_fmac_f32_e32 v104, -0.5, v4
	v_mov_b32_e32 v29, v104
	v_fmac_f32_e32 v29, 0xbf737871, v1
	v_fmac_f32_e32 v104, 0x3f737871, v1
	v_mul_f32_e32 v80, v96, v31
	v_fmac_f32_e32 v29, 0x3f167918, v0
	v_fmac_f32_e32 v104, 0xbf167918, v0
	v_add_f32_e32 v0, v105, v56
	v_fmac_f32_e32 v80, v95, v30
	v_mul_f32_e32 v82, v100, v33
	v_add_f32_e32 v0, v0, v58
	v_fmac_f32_e32 v82, v99, v32
	v_add_f32_e32 v0, v0, v80
	v_add_f32_e32 v30, v0, v82
	;; [unrolled: 1-line block ×3, first 2 shown]
	v_sub_f32_e32 v4, v9, v8
	v_sub_f32_e32 v5, v10, v11
	v_fma_f32 v51, -0.5, v0, v105
	v_add_f32_e32 v4, v4, v5
	v_sub_f32_e32 v0, v57, v83
	v_mov_b32_e32 v32, v51
	v_fmac_f32_e32 v29, 0x3e9e377a, v4
	v_fmac_f32_e32 v104, 0x3e9e377a, v4
	;; [unrolled: 1-line block ×3, first 2 shown]
	v_sub_f32_e32 v1, v79, v81
	v_sub_f32_e32 v4, v56, v58
	;; [unrolled: 1-line block ×3, first 2 shown]
	v_fmac_f32_e32 v51, 0x3f737871, v0
	v_fmac_f32_e32 v32, 0xbf167918, v1
	v_add_f32_e32 v4, v4, v5
	v_fmac_f32_e32 v51, 0x3f167918, v1
	v_fmac_f32_e32 v32, 0x3e9e377a, v4
	;; [unrolled: 1-line block ×3, first 2 shown]
	v_add_f32_e32 v4, v56, v82
	v_fma_f32 v105, -0.5, v4, v105
	v_mov_b32_e32 v55, v105
	v_fmac_f32_e32 v55, 0x3f737871, v1
	v_fmac_f32_e32 v105, 0xbf737871, v1
	;; [unrolled: 1-line block ×4, first 2 shown]
	v_add_f32_e32 v0, v106, v57
	v_add_f32_e32 v0, v0, v79
	;; [unrolled: 1-line block ×6, first 2 shown]
	v_sub_f32_e32 v4, v58, v56
	v_sub_f32_e32 v5, v80, v82
	v_fma_f32 v52, -0.5, v0, v106
	v_add_f32_e32 v4, v4, v5
	v_sub_f32_e32 v0, v56, v82
	v_mov_b32_e32 v33, v52
	v_fmac_f32_e32 v55, 0x3e9e377a, v4
	v_fmac_f32_e32 v105, 0x3e9e377a, v4
	;; [unrolled: 1-line block ×3, first 2 shown]
	v_sub_f32_e32 v1, v58, v80
	v_sub_f32_e32 v4, v57, v79
	;; [unrolled: 1-line block ×3, first 2 shown]
	v_fmac_f32_e32 v52, 0xbf737871, v0
	v_fmac_f32_e32 v33, 0x3f167918, v1
	v_add_f32_e32 v4, v4, v5
	v_fmac_f32_e32 v52, 0xbf167918, v1
	v_fmac_f32_e32 v33, 0x3e9e377a, v4
	;; [unrolled: 1-line block ×3, first 2 shown]
	v_add_f32_e32 v4, v57, v83
	v_fmac_f32_e32 v106, -0.5, v4
	v_mov_b32_e32 v56, v106
	v_fmac_f32_e32 v56, 0xbf737871, v1
	v_fmac_f32_e32 v106, 0x3f737871, v1
	v_fmac_f32_e32 v56, 0x3f167918, v0
	v_fmac_f32_e32 v106, 0xbf167918, v0
	v_add_f32_e32 v0, v6, v84
	v_add_f32_e32 v0, v0, v72
	;; [unrolled: 1-line block ×5, first 2 shown]
	v_sub_f32_e32 v4, v79, v57
	v_sub_f32_e32 v5, v81, v83
	v_fma_f32 v0, -0.5, v0, v6
	v_add_f32_e32 v4, v4, v5
	v_sub_f32_e32 v1, v71, v77
	v_mov_b32_e32 v10, v0
	v_fmac_f32_e32 v56, 0x3e9e377a, v4
	v_fmac_f32_e32 v106, 0x3e9e377a, v4
	;; [unrolled: 1-line block ×3, first 2 shown]
	v_sub_f32_e32 v5, v73, v75
	v_sub_f32_e32 v4, v84, v72
	;; [unrolled: 1-line block ×3, first 2 shown]
	v_fmac_f32_e32 v0, 0x3f737871, v1
	v_fmac_f32_e32 v10, 0xbf167918, v5
	v_add_f32_e32 v4, v4, v9
	v_fmac_f32_e32 v0, 0x3f167918, v5
	v_fmac_f32_e32 v10, 0x3e9e377a, v4
	;; [unrolled: 1-line block ×3, first 2 shown]
	v_add_f32_e32 v4, v84, v76
	v_fma_f32 v6, -0.5, v4, v6
	v_mov_b32_e32 v4, v6
	v_fmac_f32_e32 v4, 0x3f737871, v5
	v_fmac_f32_e32 v6, 0xbf737871, v5
	;; [unrolled: 1-line block ×4, first 2 shown]
	v_add_f32_e32 v1, v7, v71
	v_sub_f32_e32 v9, v72, v84
	v_sub_f32_e32 v11, v74, v76
	v_add_f32_e32 v1, v1, v73
	v_add_f32_e32 v9, v9, v11
	;; [unrolled: 1-line block ×3, first 2 shown]
	v_fmac_f32_e32 v4, 0x3e9e377a, v9
	v_fmac_f32_e32 v6, 0x3e9e377a, v9
	v_add_f32_e32 v9, v1, v77
	v_add_f32_e32 v1, v73, v75
	v_fma_f32 v1, -0.5, v1, v7
	v_sub_f32_e32 v57, v84, v76
	v_mov_b32_e32 v11, v1
	v_fmac_f32_e32 v11, 0x3f737871, v57
	v_sub_f32_e32 v58, v72, v74
	v_sub_f32_e32 v5, v71, v73
	;; [unrolled: 1-line block ×3, first 2 shown]
	v_fmac_f32_e32 v1, 0xbf737871, v57
	v_fmac_f32_e32 v11, 0x3f167918, v58
	v_add_f32_e32 v5, v5, v72
	v_fmac_f32_e32 v1, 0xbf167918, v58
	v_fmac_f32_e32 v11, 0x3e9e377a, v5
	;; [unrolled: 1-line block ×3, first 2 shown]
	v_add_f32_e32 v5, v71, v77
	v_fmac_f32_e32 v7, -0.5, v5
	v_mov_b32_e32 v5, v7
	v_fmac_f32_e32 v5, 0xbf737871, v58
	v_fmac_f32_e32 v7, 0x3f737871, v58
	;; [unrolled: 1-line block ×4, first 2 shown]
	v_mov_b32_e32 v57, 0x5a0
	v_add_f32_e32 v14, v14, v117
	v_cndmask_b32_e32 v57, 0, v57, vcc
	v_add_f32_e32 v14, v14, v118
	v_add3_u32 v13, 0, v57, v13
	ds_write2_b64 v13, v[14:15], v[18:19] offset1:36
	ds_write2_b64 v13, v[20:21], v[34:35] offset0:72 offset1:108
	ds_write_b64 v13, v[16:17] offset:1152
	v_mul_u32_u24_e32 v13, 0x5a0, v107
	v_lshlrev_b32_sdwa v14, v12, v108 dst_sel:DWORD dst_unused:UNUSED_PAD src0_sel:DWORD src1_sel:BYTE_0
	v_add3_u32 v13, 0, v13, v14
	ds_write2_b64 v13, v[22:23], v[26:27] offset1:36
	ds_write2_b64 v13, v[28:29], v[103:104] offset0:72 offset1:108
	ds_write_b64 v13, v[24:25] offset:1152
	v_mul_u32_u24_e32 v13, 0x5a0, v109
	v_lshlrev_b32_sdwa v14, v12, v110 dst_sel:DWORD dst_unused:UNUSED_PAD src0_sel:DWORD src1_sel:BYTE_0
	v_add3_u32 v13, 0, v13, v14
	v_sub_f32_e32 v71, v73, v71
	v_sub_f32_e32 v72, v75, v77
	ds_write2_b64 v13, v[30:31], v[32:33] offset1:36
	ds_write2_b64 v13, v[55:56], v[105:106] offset0:72 offset1:108
	ds_write_b64 v13, v[51:52] offset:1152
	v_mul_u32_u24_e32 v13, 0x5a0, v111
	v_lshlrev_b32_sdwa v12, v12, v112 dst_sel:DWORD dst_unused:UNUSED_PAD src0_sel:DWORD src1_sel:BYTE_0
	v_add_f32_e32 v71, v71, v72
	v_add3_u32 v12, 0, v13, v12
	v_add_u32_e32 v16, 0x400, v59
	v_fmac_f32_e32 v5, 0x3e9e377a, v71
	v_fmac_f32_e32 v7, 0x3e9e377a, v71
	ds_write2_b64 v12, v[8:9], v[10:11] offset1:36
	ds_write2_b64 v12, v[4:5], v[6:7] offset0:72 offset1:108
	ds_write_b64 v12, v[0:1] offset:1152
	s_waitcnt lgkmcnt(0)
	; wave barrier
	s_waitcnt lgkmcnt(0)
	ds_read2_b64 v[12:15], v59 offset1:180
	ds_read2_b64 v[16:19], v16 offset0:115 offset1:232
	ds_read2_b64 v[20:23], v114 offset0:39 offset1:156
	;; [unrolled: 1-line block ×5, first 2 shown]
	ds_read_b64 v[55:56], v46
	ds_read_b64 v[57:58], v59 offset:9144
	v_cmp_gt_u32_e32 vcc, 54, v36
	s_and_saveexec_b64 s[2:3], vcc
	s_cbranch_execz .LBB0_23
; %bb.22:
	ds_read_b64 v[51:52], v62
	ds_read2_b64 v[8:11], v70 offset0:50 offset1:230
	ds_read2_b64 v[4:7], v69 offset0:26 offset1:206
	;; [unrolled: 1-line block ×3, first 2 shown]
.LBB0_23:
	s_or_b64 exec, exec, s[2:3]
	v_mul_u32_u24_e32 v53, 6, v36
	v_lshlrev_b32_e32 v53, 3, v53
	global_load_dwordx4 v[69:72], v53, s[8:9] offset:1424
	global_load_dwordx4 v[73:76], v53, s[8:9] offset:1440
	;; [unrolled: 1-line block ×3, first 2 shown]
	v_mul_i32_i24_e32 v53, 6, v38
	v_lshlrev_b64 v[53:54], 3, v[53:54]
	v_mov_b32_e32 v81, s9
	v_add_co_u32_e64 v53, s[2:3], s8, v53
	v_addc_co_u32_e64 v54, s[2:3], v81, v54, s[2:3]
	global_load_dwordx4 v[81:84], v[53:54], off offset:1424
	global_load_dwordx4 v[85:88], v[53:54], off offset:1440
	;; [unrolled: 1-line block ×3, first 2 shown]
	s_mov_b32 s4, 0xbf5ff5aa
	s_mov_b32 s5, 0x3f3bfb3b
	s_mov_b32 s6, 0xbf3bfb3b
	s_mov_b32 s7, 0x3eae86e6
	s_waitcnt lgkmcnt(0)
	; wave barrier
	s_waitcnt vmcnt(5) lgkmcnt(0)
	v_mul_f32_e32 v53, v70, v15
	v_mul_f32_e32 v54, v70, v14
	;; [unrolled: 1-line block ×3, first 2 shown]
	s_waitcnt vmcnt(4)
	v_mul_f32_e32 v93, v74, v23
	v_mul_f32_e32 v74, v74, v22
	s_waitcnt vmcnt(3)
	v_mul_f32_e32 v95, v78, v31
	v_mul_f32_e32 v96, v80, v35
	;; [unrolled: 1-line block ×7, first 2 shown]
	v_fmac_f32_e32 v53, v69, v14
	v_fma_f32 v14, v69, v15, -v54
	v_fmac_f32_e32 v70, v71, v18
	v_fma_f32 v18, v73, v23, -v74
	v_fmac_f32_e32 v95, v77, v30
	v_fmac_f32_e32 v96, v79, v34
	v_fma_f32 v23, v79, v35, -v80
	v_fma_f32 v15, v71, v19, -v72
	v_fmac_f32_e32 v93, v73, v22
	v_fmac_f32_e32 v94, v75, v26
	v_fma_f32 v19, v75, v27, -v76
	v_fma_f32 v22, v77, v31, -v78
	s_waitcnt vmcnt(2)
	v_mul_f32_e32 v26, v82, v17
	v_add_f32_e32 v75, v53, v96
	v_add_f32_e32 v76, v14, v23
	v_sub_f32_e32 v14, v14, v23
	v_add_f32_e32 v23, v70, v95
	v_mul_f32_e32 v27, v82, v16
	v_add_f32_e32 v77, v15, v22
	v_sub_f32_e32 v15, v15, v22
	v_add_f32_e32 v22, v93, v94
	v_fmac_f32_e32 v26, v81, v16
	v_add_f32_e32 v16, v23, v75
	v_add_f32_e32 v78, v18, v19
	v_fma_f32 v27, v81, v17, -v27
	v_add_f32_e32 v17, v77, v76
	v_add_f32_e32 v16, v22, v16
	v_mul_f32_e32 v31, v84, v20
	s_waitcnt vmcnt(1)
	v_mul_f32_e32 v34, v25, v86
	v_mul_f32_e32 v35, v24, v86
	v_mul_f32_e32 v54, v29, v88
	v_mul_f32_e32 v69, v28, v88
	s_waitcnt vmcnt(0)
	v_mul_f32_e32 v71, v33, v90
	v_mul_f32_e32 v72, v32, v90
	v_mul_f32_e32 v73, v58, v92
	v_mul_f32_e32 v74, v57, v92
	v_sub_f32_e32 v53, v53, v96
	v_sub_f32_e32 v70, v70, v95
	;; [unrolled: 1-line block ×4, first 2 shown]
	v_add_f32_e32 v17, v78, v17
	v_add_f32_e32 v12, v16, v12
	v_mul_f32_e32 v30, v84, v21
	v_fma_f32 v31, v83, v21, -v31
	v_fmac_f32_e32 v34, v24, v85
	v_fma_f32 v35, v25, v85, -v35
	v_fmac_f32_e32 v54, v28, v87
	;; [unrolled: 2-line block ×4, first 2 shown]
	v_fma_f32 v32, v58, v91, -v74
	v_sub_f32_e32 v19, v23, v75
	v_sub_f32_e32 v21, v75, v22
	;; [unrolled: 1-line block ×5, first 2 shown]
	v_add_f32_e32 v33, v79, v70
	v_add_f32_e32 v57, v18, v15
	v_sub_f32_e32 v58, v79, v70
	v_sub_f32_e32 v69, v18, v15
	;; [unrolled: 1-line block ×4, first 2 shown]
	v_add_f32_e32 v13, v17, v13
	v_mov_b32_e32 v75, v12
	v_fmac_f32_e32 v30, v83, v20
	v_sub_f32_e32 v20, v77, v76
	v_sub_f32_e32 v72, v53, v79
	v_sub_f32_e32 v18, v14, v18
	v_add_f32_e32 v22, v33, v53
	v_add_f32_e32 v14, v57, v14
	v_mul_f32_e32 v21, 0x3f4a47b2, v21
	v_mul_f32_e32 v24, 0x3f4a47b2, v24
	;; [unrolled: 1-line block ×8, first 2 shown]
	v_fmac_f32_e32 v75, 0xbf955555, v16
	v_mov_b32_e32 v16, v13
	v_fmac_f32_e32 v16, 0xbf955555, v17
	v_fma_f32 v17, v19, s5, -v33
	v_fma_f32 v33, v20, s5, -v53
	;; [unrolled: 1-line block ×3, first 2 shown]
	v_fmac_f32_e32 v21, 0x3d64c772, v23
	v_fma_f32 v20, v20, s6, -v24
	v_fmac_f32_e32 v24, 0x3d64c772, v25
	v_fma_f32 v23, v70, s4, -v57
	v_fma_f32 v25, v15, s4, -v58
	;; [unrolled: 1-line block ×4, first 2 shown]
	v_fmac_f32_e32 v57, 0xbeae86e6, v72
	v_fmac_f32_e32 v58, 0xbeae86e6, v18
	v_add_f32_e32 v70, v21, v75
	v_add_f32_e32 v72, v24, v16
	;; [unrolled: 1-line block ×6, first 2 shown]
	v_fmac_f32_e32 v23, 0xbee1c552, v22
	v_fmac_f32_e32 v25, 0xbee1c552, v14
	;; [unrolled: 1-line block ×6, first 2 shown]
	v_add_f32_e32 v16, v69, v33
	v_sub_f32_e32 v17, v74, v53
	v_sub_f32_e32 v18, v21, v25
	v_add_f32_e32 v19, v23, v24
	v_add_f32_e32 v20, v25, v21
	v_sub_f32_e32 v21, v24, v23
	v_sub_f32_e32 v22, v33, v69
	v_add_f32_e32 v23, v53, v74
	v_add_f32_e32 v33, v26, v73
	;; [unrolled: 1-line block ×3, first 2 shown]
	v_sub_f32_e32 v27, v27, v32
	v_add_f32_e32 v32, v30, v71
	v_add_f32_e32 v14, v58, v70
	v_sub_f32_e32 v15, v72, v57
	v_sub_f32_e32 v24, v70, v58
	v_add_f32_e32 v25, v57, v72
	v_add_f32_e32 v57, v31, v29
	v_sub_f32_e32 v30, v30, v71
	;; [unrolled: 4-line block ×3, first 2 shown]
	v_sub_f32_e32 v28, v28, v35
	v_add_f32_e32 v35, v32, v33
	v_sub_f32_e32 v26, v26, v73
	v_add_f32_e32 v54, v57, v53
	v_sub_f32_e32 v69, v32, v33
	v_sub_f32_e32 v33, v33, v31
	;; [unrolled: 1-line block ×3, first 2 shown]
	v_add_f32_e32 v71, v34, v30
	v_add_f32_e32 v31, v31, v35
	;; [unrolled: 1-line block ×3, first 2 shown]
	v_sub_f32_e32 v73, v34, v30
	v_sub_f32_e32 v34, v26, v34
	;; [unrolled: 1-line block ×3, first 2 shown]
	v_add_f32_e32 v35, v58, v54
	v_add_f32_e32 v54, v71, v26
	;; [unrolled: 1-line block ×3, first 2 shown]
	v_sub_f32_e32 v70, v57, v53
	v_sub_f32_e32 v53, v53, v58
	;; [unrolled: 1-line block ×6, first 2 shown]
	v_add_f32_e32 v58, v72, v27
	v_add_f32_e32 v27, v35, v56
	v_mov_b32_e32 v75, v26
	v_mul_f32_e32 v33, 0x3f4a47b2, v33
	v_mul_f32_e32 v53, 0x3f4a47b2, v53
	;; [unrolled: 1-line block ×8, first 2 shown]
	v_fmac_f32_e32 v75, 0xbf955555, v31
	v_mov_b32_e32 v31, v27
	v_fmac_f32_e32 v31, 0xbf955555, v35
	v_fma_f32 v35, v69, s5, -v55
	v_fma_f32 v55, v70, s5, -v56
	;; [unrolled: 1-line block ×3, first 2 shown]
	v_fmac_f32_e32 v33, 0x3d64c772, v32
	v_fma_f32 v32, v70, s6, -v53
	v_fmac_f32_e32 v53, 0x3d64c772, v57
	v_fma_f32 v57, v30, s4, -v71
	;; [unrolled: 2-line block ×4, first 2 shown]
	v_fma_f32 v73, v28, s7, -v74
	ds_write2_b64 v59, v[12:13], v[14:15] offset1:180
	v_add_u32_e32 v12, 0xa00, v59
	v_add_f32_e32 v74, v33, v75
	v_add_f32_e32 v76, v53, v31
	;; [unrolled: 1-line block ×6, first 2 shown]
	v_fmac_f32_e32 v71, 0xbee1c552, v54
	v_fmac_f32_e32 v72, 0xbee1c552, v58
	;; [unrolled: 1-line block ×6, first 2 shown]
	ds_write2_b64 v12, v[16:17], v[18:19] offset0:40 offset1:220
	v_add_u32_e32 v12, 0x1600, v59
	v_add_f32_e32 v28, v72, v74
	v_sub_f32_e32 v29, v76, v71
	v_add_f32_e32 v30, v73, v53
	v_sub_f32_e32 v31, v55, v70
	v_sub_f32_e32 v32, v34, v69
	v_add_f32_e32 v33, v57, v35
	ds_write2_b64 v12, v[20:21], v[22:23] offset0:16 offset1:196
	ds_write_b64 v59, v[24:25] offset:8640
	ds_write2_b64 v46, v[26:27], v[28:29] offset1:180
	v_add_u32_e32 v12, 0xa00, v46
	v_add_f32_e32 v34, v69, v34
	v_sub_f32_e32 v35, v35, v57
	v_sub_f32_e32 v53, v53, v73
	v_add_f32_e32 v54, v70, v55
	ds_write2_b64 v12, v[30:31], v[32:33] offset0:40 offset1:220
	v_add_u32_e32 v12, 0x1600, v46
	v_sub_f32_e32 v55, v74, v72
	v_add_f32_e32 v56, v71, v76
	ds_write2_b64 v12, v[34:35], v[53:54] offset0:16 offset1:196
	ds_write_b64 v46, v[55:56] offset:8640
	s_and_saveexec_b64 s[2:3], vcc
	s_cbranch_execz .LBB0_25
; %bb.24:
	v_subrev_u32_e32 v12, 54, v36
	v_cndmask_b32_e32 v12, v12, v50, vcc
	v_mul_i32_i24_e32 v12, 6, v12
	v_mov_b32_e32 v13, 0
	v_lshlrev_b64 v[12:13], 3, v[12:13]
	v_mov_b32_e32 v14, s9
	v_add_co_u32_e32 v24, vcc, s8, v12
	v_addc_co_u32_e32 v25, vcc, v14, v13, vcc
	global_load_dwordx4 v[12:15], v[24:25], off offset:1424
	global_load_dwordx4 v[16:19], v[24:25], off offset:1456
	global_load_dwordx4 v[20:23], v[24:25], off offset:1440
	s_waitcnt vmcnt(2)
	v_mul_f32_e32 v24, v9, v13
	s_waitcnt vmcnt(1)
	v_mul_f32_e32 v25, v3, v19
	;; [unrolled: 2-line block ×3, first 2 shown]
	v_mul_f32_e32 v27, v5, v21
	v_mul_f32_e32 v28, v11, v15
	;; [unrolled: 1-line block ×9, first 2 shown]
	v_fmac_f32_e32 v24, v8, v12
	v_fmac_f32_e32 v25, v2, v18
	;; [unrolled: 1-line block ×6, first 2 shown]
	v_fma_f32 v0, v3, v18, -v19
	v_fma_f32 v2, v9, v12, -v13
	;; [unrolled: 1-line block ×6, first 2 shown]
	v_sub_f32_e32 v7, v26, v27
	v_sub_f32_e32 v8, v28, v29
	v_add_f32_e32 v9, v2, v0
	v_add_f32_e32 v10, v3, v4
	;; [unrolled: 1-line block ×6, first 2 shown]
	v_sub_f32_e32 v6, v24, v25
	v_sub_f32_e32 v15, v2, v0
	;; [unrolled: 1-line block ×5, first 2 shown]
	v_add_f32_e32 v3, v7, v8
	v_sub_f32_e32 v5, v9, v10
	v_add_f32_e32 v16, v11, v9
	v_sub_f32_e32 v17, v12, v13
	;; [unrolled: 2-line block ×3, first 2 shown]
	v_sub_f32_e32 v7, v10, v11
	v_sub_f32_e32 v18, v13, v14
	;; [unrolled: 1-line block ×4, first 2 shown]
	v_add_f32_e32 v0, v0, v4
	v_sub_f32_e32 v8, v8, v6
	v_sub_f32_e32 v9, v11, v9
	v_mul_f32_e32 v11, 0x3f08b237, v1
	v_add_f32_e32 v6, v3, v6
	v_mul_f32_e32 v5, 0x3f4a47b2, v5
	v_add_f32_e32 v3, v10, v16
	v_mul_f32_e32 v10, 0x3f4a47b2, v17
	v_add_f32_e32 v13, v13, v19
	v_mul_f32_e32 v17, 0x3f08b237, v21
	v_add_f32_e32 v19, v0, v15
	v_mul_f32_e32 v21, 0xbf5ff5aa, v8
	v_mov_b32_e32 v23, v11
	v_mov_b32_e32 v24, v5
	v_add_f32_e32 v1, v52, v3
	v_mov_b32_e32 v25, v10
	v_add_f32_e32 v0, v51, v13
	v_mul_f32_e32 v22, 0x3d64c772, v7
	v_mul_f32_e32 v16, 0x3d64c772, v18
	v_mov_b32_e32 v26, v17
	v_fma_f32 v21, v2, s7, -v21
	v_fmac_f32_e32 v23, 0xbeae86e6, v2
	v_fmac_f32_e32 v24, 0x3d64c772, v7
	v_mov_b32_e32 v7, v1
	v_fmac_f32_e32 v25, 0x3d64c772, v18
	v_mov_b32_e32 v18, v0
	v_sub_f32_e32 v12, v14, v12
	v_sub_f32_e32 v14, v4, v15
	v_fma_f32 v8, v8, s4, -v11
	v_fmac_f32_e32 v26, 0xbeae86e6, v20
	v_fmac_f32_e32 v21, 0xbee1c552, v6
	;; [unrolled: 1-line block ×5, first 2 shown]
	v_fma_f32 v5, v9, s6, -v5
	v_mul_f32_e32 v4, 0xbf5ff5aa, v14
	v_fma_f32 v9, v9, s5, -v22
	v_fmac_f32_e32 v8, 0xbee1c552, v6
	v_fma_f32 v11, v14, s4, -v17
	v_fma_f32 v6, v12, s5, -v16
	v_fmac_f32_e32 v26, 0xbee1c552, v19
	v_add_f32_e32 v13, v24, v7
	v_add_f32_e32 v24, v25, v18
	v_fma_f32 v10, v12, s6, -v10
	v_fma_f32 v15, v20, s7, -v4
	v_add_f32_e32 v9, v9, v7
	v_fmac_f32_e32 v11, 0xbee1c552, v19
	v_add_f32_e32 v12, v6, v18
	v_add_f32_e32 v3, v23, v13
	;; [unrolled: 1-line block ×4, first 2 shown]
	v_fmac_f32_e32 v15, 0xbee1c552, v19
	v_sub_f32_e32 v7, v9, v8
	v_add_f32_e32 v6, v11, v12
	v_add_f32_e32 v9, v8, v9
	v_sub_f32_e32 v8, v12, v11
	v_sub_f32_e32 v13, v13, v23
	v_add_f32_e32 v12, v26, v24
	v_add_u32_e32 v14, 0x200, v59
	v_sub_f32_e32 v4, v10, v15
	v_sub_f32_e32 v11, v25, v21
	v_add_f32_e32 v10, v15, v10
	ds_write2_b64 v14, v[0:1], v[12:13] offset0:62 offset1:242
	v_add_u32_e32 v0, 0xe00, v59
	v_add_f32_e32 v5, v21, v25
	ds_write2_b64 v0, v[10:11], v[8:9] offset0:38 offset1:218
	v_add_u32_e32 v0, 0x1a00, v59
	v_sub_f32_e32 v2, v24, v26
	ds_write2_b64 v0, v[6:7], v[4:5] offset0:14 offset1:194
	ds_write_b64 v59, v[2:3] offset:9648
.LBB0_25:
	s_or_b64 exec, exec, s[2:3]
	s_waitcnt lgkmcnt(0)
	; wave barrier
	s_waitcnt lgkmcnt(0)
	ds_read_b64 v[2:3], v59
	s_add_u32 s4, s8, 0x2750
	s_addc_u32 s5, s9, 0
	v_sub_u32_e32 v4, 0, v37
	v_cmp_ne_u32_e32 vcc, 0, v36
                                        ; implicit-def: $vgpr0
                                        ; implicit-def: $vgpr7
                                        ; implicit-def: $vgpr8
	s_and_saveexec_b64 s[2:3], vcc
	s_xor_b64 s[2:3], exec, s[2:3]
	s_cbranch_execz .LBB0_27
; %bb.26:
	v_mov_b32_e32 v37, 0
	v_lshlrev_b64 v[0:1], 3, v[36:37]
	v_mov_b32_e32 v5, s5
	v_add_co_u32_e32 v0, vcc, s4, v0
	v_addc_co_u32_e32 v1, vcc, v5, v1, vcc
	global_load_dwordx2 v[5:6], v[0:1], off
	ds_read_b64 v[0:1], v4 offset:10080
	s_waitcnt lgkmcnt(0)
	v_add_f32_e32 v9, v0, v2
	v_sub_f32_e32 v0, v2, v0
	v_add_f32_e32 v7, v1, v3
	v_sub_f32_e32 v1, v3, v1
	v_mul_f32_e32 v3, 0.5, v0
	v_mul_f32_e32 v2, 0.5, v7
	;; [unrolled: 1-line block ×3, first 2 shown]
	s_waitcnt vmcnt(0)
	v_mul_f32_e32 v1, v6, v3
	v_fma_f32 v8, v2, v6, v0
	v_fma_f32 v6, v2, v6, -v0
	v_fma_f32 v7, 0.5, v9, v1
	v_fma_f32 v0, v9, 0.5, -v1
	v_fma_f32 v8, -v5, v3, v8
	v_fmac_f32_e32 v7, v5, v2
	v_fma_f32 v0, -v5, v2, v0
	v_fma_f32 v1, -v5, v3, v6
                                        ; implicit-def: $vgpr2_vgpr3
.LBB0_27:
	s_or_saveexec_b64 s[2:3], s[2:3]
	v_sub_u32_e32 v6, 0, v64
	v_sub_u32_e32 v5, 0, v39
	s_xor_b64 exec, exec, s[2:3]
	s_cbranch_execz .LBB0_29
; %bb.28:
	v_mov_b32_e32 v8, 0
	ds_read_b32 v1, v8 offset:5044
	s_waitcnt lgkmcnt(1)
	v_add_f32_e32 v7, v2, v3
	v_sub_f32_e32 v0, v2, v3
	s_waitcnt lgkmcnt(0)
	v_xor_b32_e32 v1, 0x80000000, v1
	ds_write_b32 v8, v1 offset:5044
	v_mov_b32_e32 v1, 0
.LBB0_29:
	s_or_b64 exec, exec, s[2:3]
	v_mov_b32_e32 v39, 0
	s_waitcnt lgkmcnt(0)
	v_lshlrev_b64 v[2:3], 3, v[38:39]
	v_mov_b32_e32 v9, s5
	v_add_co_u32_e32 v2, vcc, s4, v2
	v_addc_co_u32_e32 v3, vcc, v9, v3, vcc
	global_load_dwordx2 v[2:3], v[2:3], off
	v_mov_b32_e32 v51, v39
	v_lshlrev_b64 v[9:10], 3, v[50:51]
	v_mov_b32_e32 v11, s5
	v_add_co_u32_e32 v9, vcc, s4, v9
	v_addc_co_u32_e32 v10, vcc, v11, v10, vcc
	global_load_dwordx2 v[9:10], v[9:10], off
	v_mov_b32_e32 v50, v39
	v_lshlrev_b64 v[11:12], 3, v[49:50]
	v_mov_b32_e32 v13, s5
	v_add_co_u32_e32 v11, vcc, s4, v11
	v_addc_co_u32_e32 v12, vcc, v13, v12, vcc
	global_load_dwordx2 v[11:12], v[11:12], off
	ds_write2_b32 v59, v7, v8 offset1:1
	ds_write_b64 v4, v[0:1] offset:10080
	ds_read_b64 v[0:1], v46
	ds_read_b64 v[7:8], v4 offset:9576
	v_mov_b32_e32 v49, v39
	v_lshlrev_b64 v[13:14], 3, v[48:49]
	v_mov_b32_e32 v15, s5
	v_add_co_u32_e32 v13, vcc, s4, v13
	v_addc_co_u32_e32 v14, vcc, v15, v14, vcc
	s_waitcnt lgkmcnt(0)
	v_add_f32_e32 v15, v0, v7
	v_sub_f32_e32 v0, v0, v7
	v_add_f32_e32 v16, v1, v8
	v_sub_f32_e32 v1, v1, v8
	v_mul_f32_e32 v0, 0.5, v0
	v_mul_f32_e32 v7, 0.5, v16
	;; [unrolled: 1-line block ×3, first 2 shown]
	global_load_dwordx2 v[13:14], v[13:14], off
	v_mov_b32_e32 v17, s5
	v_mov_b32_e32 v48, v39
	;; [unrolled: 1-line block ×3, first 2 shown]
	v_add_u32_e32 v6, v61, v6
	v_add_u32_e32 v5, v60, v5
	s_waitcnt vmcnt(3)
	v_mul_f32_e32 v8, v3, v0
	v_fma_f32 v16, v7, v3, v1
	v_fma_f32 v1, v7, v3, -v1
	v_fma_f32 v3, 0.5, v15, v8
	v_fma_f32 v16, -v2, v0, v16
	v_fma_f32 v8, v15, 0.5, -v8
	v_fmac_f32_e32 v3, v2, v7
	v_fma_f32 v1, -v2, v0, v1
	v_fma_f32 v0, -v2, v7, v8
	ds_write2_b32 v46, v3, v16 offset1:1
	ds_write_b64 v4, v[0:1] offset:9576
	ds_read_b64 v[0:1], v62
	ds_read_b64 v[2:3], v4 offset:9072
	v_mov_b32_e32 v46, v39
	v_lshlrev_b64 v[7:8], 3, v[45:46]
	v_lshlrev_b64 v[15:16], 3, v[47:48]
	v_add_co_u32_e32 v7, vcc, s4, v7
	s_waitcnt lgkmcnt(0)
	v_add_f32_e32 v19, v0, v2
	v_sub_f32_e32 v0, v0, v2
	v_add_f32_e32 v20, v1, v3
	v_sub_f32_e32 v1, v1, v3
	v_mul_f32_e32 v0, 0.5, v0
	v_mul_f32_e32 v2, 0.5, v20
	;; [unrolled: 1-line block ×3, first 2 shown]
	s_waitcnt vmcnt(2)
	v_mul_f32_e32 v3, v10, v0
	v_fma_f32 v20, v2, v10, v1
	v_fma_f32 v1, v2, v10, -v1
	v_fma_f32 v10, 0.5, v19, v3
	v_fma_f32 v20, -v9, v0, v20
	v_fma_f32 v3, v19, 0.5, -v3
	v_fmac_f32_e32 v10, v9, v2
	v_fma_f32 v1, -v9, v0, v1
	v_fma_f32 v0, -v9, v2, v3
	ds_write2_b32 v62, v10, v20 offset1:1
	ds_write_b64 v4, v[0:1] offset:9072
	v_addc_co_u32_e32 v8, vcc, v17, v8, vcc
	ds_read_b64 v[0:1], v67
	ds_read_b64 v[2:3], v4 offset:8568
	global_load_dwordx2 v[7:8], v[7:8], off
	v_mov_b32_e32 v45, v39
	s_waitcnt lgkmcnt(0)
	v_add_f32_e32 v9, v0, v2
	v_add_f32_e32 v10, v1, v3
	v_sub_f32_e32 v0, v0, v2
	v_sub_f32_e32 v1, v1, v3
	v_mul_f32_e32 v2, 0.5, v10
	v_mul_f32_e32 v0, 0.5, v0
	;; [unrolled: 1-line block ×3, first 2 shown]
	s_waitcnt vmcnt(2)
	v_mul_f32_e32 v3, v12, v0
	v_fma_f32 v10, v2, v12, v1
	v_fma_f32 v1, v2, v12, -v1
	v_fma_f32 v12, 0.5, v9, v3
	v_fma_f32 v10, -v11, v0, v10
	v_fma_f32 v3, v9, 0.5, -v3
	v_fma_f32 v0, -v11, v0, v1
	v_fmac_f32_e32 v12, v11, v2
	ds_write_b32 v67, v10 offset:4
	v_fma_f32 v1, -v11, v2, v3
	ds_write_b32 v4, v0 offset:8572
	ds_write_b32 v67, v12
	ds_write_b32 v4, v1 offset:8568
	v_add_co_u32_e32 v0, vcc, s4, v15
	v_addc_co_u32_e32 v1, vcc, v18, v16, vcc
	global_load_dwordx2 v[0:1], v[0:1], off
	ds_read_b64 v[2:3], v66
	ds_read_b64 v[9:10], v4 offset:8064
	s_waitcnt lgkmcnt(0)
	v_add_f32_e32 v11, v2, v9
	v_add_f32_e32 v12, v3, v10
	v_sub_f32_e32 v2, v2, v9
	v_sub_f32_e32 v3, v3, v10
	v_mul_f32_e32 v12, 0.5, v12
	v_mul_f32_e32 v2, 0.5, v2
	;; [unrolled: 1-line block ×3, first 2 shown]
	s_waitcnt vmcnt(2)
	v_mul_f32_e32 v9, v14, v2
	v_fma_f32 v15, v12, v14, v3
	v_fma_f32 v3, v12, v14, -v3
	v_fma_f32 v10, 0.5, v11, v9
	v_fma_f32 v15, -v13, v2, v15
	v_fma_f32 v9, v11, 0.5, -v9
	v_fma_f32 v2, -v13, v2, v3
	v_fmac_f32_e32 v10, v13, v12
	ds_write_b32 v66, v15 offset:4
	v_fma_f32 v9, -v13, v12, v9
	ds_write_b32 v4, v2 offset:8068
	ds_write_b32 v66, v10
	ds_write_b32 v4, v9 offset:8064
	v_lshlrev_b64 v[11:12], 3, v[44:45]
	ds_read_b64 v[2:3], v65
	ds_read_b64 v[9:10], v4 offset:7560
	v_mov_b32_e32 v13, s5
	v_add_co_u32_e32 v11, vcc, s4, v11
	v_addc_co_u32_e32 v12, vcc, v13, v12, vcc
	global_load_dwordx2 v[11:12], v[11:12], off
	s_waitcnt lgkmcnt(0)
	v_add_f32_e32 v13, v2, v9
	v_add_f32_e32 v14, v3, v10
	v_sub_f32_e32 v2, v2, v9
	v_sub_f32_e32 v3, v3, v10
	v_mov_b32_e32 v44, v39
	v_mul_f32_e32 v9, 0.5, v2
	v_mul_f32_e32 v10, 0.5, v3
	v_lshlrev_b64 v[2:3], 3, v[43:44]
	v_mov_b32_e32 v15, s5
	v_add_co_u32_e32 v2, vcc, s4, v2
	v_mul_f32_e32 v14, 0.5, v14
	v_addc_co_u32_e32 v3, vcc, v15, v3, vcc
	global_load_dwordx2 v[2:3], v[2:3], off
	v_mov_b32_e32 v43, v39
	s_waitcnt vmcnt(3)
	v_mul_f32_e32 v15, v8, v9
	v_fma_f32 v16, 0.5, v13, v15
	v_fma_f32 v17, v14, v8, v10
	v_fma_f32 v13, v13, 0.5, -v15
	v_fma_f32 v8, v14, v8, -v10
	v_fmac_f32_e32 v16, v7, v14
	v_fma_f32 v17, -v7, v9, v17
	v_fma_f32 v13, -v7, v14, v13
	;; [unrolled: 1-line block ×3, first 2 shown]
	ds_write_b32 v65, v17 offset:4
	ds_write_b32 v4, v7 offset:7564
	ds_write_b32 v65, v16
	ds_write_b32 v4, v13 offset:7560
	ds_read_b64 v[7:8], v63
	ds_read_b64 v[9:10], v4 offset:7056
	v_mov_b32_e32 v16, s5
	s_waitcnt lgkmcnt(0)
	v_add_f32_e32 v13, v7, v9
	v_add_f32_e32 v14, v8, v10
	v_sub_f32_e32 v7, v7, v9
	v_sub_f32_e32 v8, v8, v10
	v_mul_f32_e32 v9, 0.5, v7
	v_mul_f32_e32 v10, 0.5, v8
	v_lshlrev_b64 v[7:8], 3, v[42:43]
	v_mul_f32_e32 v14, 0.5, v14
	v_add_co_u32_e32 v7, vcc, s4, v7
	v_addc_co_u32_e32 v8, vcc, v16, v8, vcc
	global_load_dwordx2 v[7:8], v[7:8], off
	s_waitcnt vmcnt(3)
	v_mul_f32_e32 v15, v1, v9
	v_fma_f32 v16, 0.5, v13, v15
	v_fma_f32 v17, v14, v1, v10
	v_fma_f32 v13, v13, 0.5, -v15
	v_fma_f32 v1, v14, v1, -v10
	v_fmac_f32_e32 v16, v0, v14
	v_fma_f32 v17, -v0, v9, v17
	v_fma_f32 v13, -v0, v14, v13
	;; [unrolled: 1-line block ×3, first 2 shown]
	ds_write_b32 v63, v17 offset:4
	ds_write_b32 v4, v0 offset:7060
	ds_write_b32 v63, v16
	ds_write_b32 v4, v13 offset:7056
	ds_read_b64 v[0:1], v6
	ds_read_b64 v[9:10], v4 offset:6552
	s_waitcnt lgkmcnt(0)
	v_add_f32_e32 v13, v0, v9
	v_add_f32_e32 v14, v1, v10
	v_sub_f32_e32 v0, v0, v9
	v_sub_f32_e32 v1, v1, v10
	v_mul_f32_e32 v14, 0.5, v14
	v_mul_f32_e32 v0, 0.5, v0
	v_mul_f32_e32 v1, 0.5, v1
	s_waitcnt vmcnt(2)
	v_mul_f32_e32 v9, v12, v0
	v_fma_f32 v15, v14, v12, v1
	v_fma_f32 v1, v14, v12, -v1
	v_fma_f32 v10, 0.5, v13, v9
	v_fma_f32 v15, -v11, v0, v15
	v_fma_f32 v9, v13, 0.5, -v9
	v_fma_f32 v0, -v11, v0, v1
	v_fmac_f32_e32 v10, v11, v14
	ds_write_b32 v6, v15 offset:4
	v_fma_f32 v9, -v11, v14, v9
	ds_write_b32 v4, v0 offset:6556
	ds_write_b32 v6, v10
	ds_write_b32 v4, v9 offset:6552
	ds_read_b64 v[0:1], v68
	ds_read_b64 v[9:10], v4 offset:6048
	s_waitcnt lgkmcnt(0)
	v_add_f32_e32 v6, v0, v9
	v_add_f32_e32 v11, v1, v10
	v_sub_f32_e32 v0, v0, v9
	v_sub_f32_e32 v1, v1, v10
	v_mul_f32_e32 v11, 0.5, v11
	v_mul_f32_e32 v0, 0.5, v0
	v_mul_f32_e32 v1, 0.5, v1
	s_waitcnt vmcnt(1)
	v_mul_f32_e32 v9, v3, v0
	v_fma_f32 v12, v11, v3, v1
	v_fma_f32 v1, v11, v3, -v1
	v_fma_f32 v10, 0.5, v6, v9
	v_fma_f32 v12, -v2, v0, v12
	v_fma_f32 v6, v6, 0.5, -v9
	v_fma_f32 v0, -v2, v0, v1
	v_fmac_f32_e32 v10, v2, v11
	ds_write_b32 v68, v12 offset:4
	v_fma_f32 v6, -v2, v11, v6
	;; [unrolled: 24-line block ×3, first 2 shown]
	ds_write_b32 v4, v0 offset:5548
	ds_write_b32 v5, v3
	ds_write_b32 v4, v2 offset:5544
	s_waitcnt lgkmcnt(0)
	; wave barrier
	s_waitcnt lgkmcnt(0)
	s_and_saveexec_b64 s[2:3], s[0:1]
	s_cbranch_execz .LBB0_32
; %bb.30:
	v_mov_b32_e32 v37, v39
	ds_read2_b64 v[2:5], v59 offset1:63
	v_mov_b32_e32 v0, s13
	v_add_co_u32_e32 v1, vcc, s12, v40
	v_lshlrev_b64 v[10:11], 3, v[36:37]
	v_addc_co_u32_e32 v0, vcc, v0, v41, vcc
	ds_read2_b64 v[6:9], v59 offset0:126 offset1:189
	v_add_co_u32_e32 v14, vcc, v1, v10
	v_addc_co_u32_e32 v15, vcc, v0, v11, vcc
	s_waitcnt lgkmcnt(1)
	global_store_dwordx2 v[14:15], v[2:3], off
	global_store_dwordx2 v[14:15], v[4:5], off offset:504
	s_waitcnt lgkmcnt(0)
	global_store_dwordx2 v[14:15], v[6:7], off offset:1008
	global_store_dwordx2 v[14:15], v[8:9], off offset:1512
	v_add_u32_e32 v2, 0x400, v59
	ds_read2_b64 v[2:5], v2 offset0:124 offset1:187
	v_add_u32_e32 v6, 0x800, v59
	ds_read2_b64 v[6:9], v6 offset0:122 offset1:185
	;; [unrolled: 2-line block ×3, first 2 shown]
	s_waitcnt lgkmcnt(2)
	global_store_dwordx2 v[14:15], v[2:3], off offset:2016
	global_store_dwordx2 v[14:15], v[4:5], off offset:2520
	s_waitcnt lgkmcnt(1)
	global_store_dwordx2 v[14:15], v[6:7], off offset:3024
	global_store_dwordx2 v[14:15], v[8:9], off offset:3528
	s_waitcnt lgkmcnt(0)
	global_store_dwordx2 v[14:15], v[10:11], off offset:4032
	v_add_u32_e32 v2, 0x1000, v59
	ds_read2_b64 v[2:5], v2 offset0:118 offset1:181
	s_movk_i32 s0, 0x1000
	v_add_co_u32_e32 v16, vcc, s0, v14
	v_addc_co_u32_e32 v17, vcc, 0, v15, vcc
	global_store_dwordx2 v[16:17], v[12:13], off offset:440
	s_waitcnt lgkmcnt(0)
	global_store_dwordx2 v[16:17], v[2:3], off offset:944
	global_store_dwordx2 v[16:17], v[4:5], off offset:1448
	v_add_u32_e32 v2, 0x1400, v59
	ds_read2_b64 v[2:5], v2 offset0:116 offset1:179
	v_add_u32_e32 v6, 0x1800, v59
	ds_read2_b64 v[6:9], v6 offset0:114 offset1:177
	;; [unrolled: 2-line block ×3, first 2 shown]
	s_waitcnt lgkmcnt(2)
	global_store_dwordx2 v[16:17], v[2:3], off offset:1952
	global_store_dwordx2 v[16:17], v[4:5], off offset:2456
	s_waitcnt lgkmcnt(1)
	global_store_dwordx2 v[16:17], v[6:7], off offset:2960
	global_store_dwordx2 v[16:17], v[8:9], off offset:3464
	s_waitcnt lgkmcnt(0)
	global_store_dwordx2 v[16:17], v[10:11], off offset:3968
	v_add_u32_e32 v2, 0x2000, v59
	ds_read2_b64 v[2:5], v2 offset0:110 offset1:173
	v_add_co_u32_e32 v6, vcc, 0x2000, v14
	v_addc_co_u32_e32 v7, vcc, 0, v15, vcc
	v_cmp_eq_u32_e32 vcc, 62, v36
	global_store_dwordx2 v[6:7], v[12:13], off offset:376
	s_waitcnt lgkmcnt(0)
	global_store_dwordx2 v[6:7], v[2:3], off offset:880
	global_store_dwordx2 v[6:7], v[4:5], off offset:1384
	s_and_b64 exec, exec, vcc
	s_cbranch_execz .LBB0_32
; %bb.31:
	v_mov_b32_e32 v2, 0
	ds_read_b64 v[2:3], v2 offset:10080
	v_add_co_u32_e32 v4, vcc, 0x2000, v1
	v_addc_co_u32_e32 v5, vcc, 0, v0, vcc
	s_waitcnt lgkmcnt(0)
	global_store_dwordx2 v[4:5], v[2:3], off offset:1888
.LBB0_32:
	s_endpgm
	.section	.rodata,"a",@progbits
	.p2align	6, 0x0
	.amdhsa_kernel fft_rtc_back_len1260_factors_2_2_3_3_5_7_wgs_63_tpt_63_halfLds_sp_ip_CI_unitstride_sbrr_R2C_dirReg
		.amdhsa_group_segment_fixed_size 0
		.amdhsa_private_segment_fixed_size 0
		.amdhsa_kernarg_size 88
		.amdhsa_user_sgpr_count 6
		.amdhsa_user_sgpr_private_segment_buffer 1
		.amdhsa_user_sgpr_dispatch_ptr 0
		.amdhsa_user_sgpr_queue_ptr 0
		.amdhsa_user_sgpr_kernarg_segment_ptr 1
		.amdhsa_user_sgpr_dispatch_id 0
		.amdhsa_user_sgpr_flat_scratch_init 0
		.amdhsa_user_sgpr_private_segment_size 0
		.amdhsa_uses_dynamic_stack 0
		.amdhsa_system_sgpr_private_segment_wavefront_offset 0
		.amdhsa_system_sgpr_workgroup_id_x 1
		.amdhsa_system_sgpr_workgroup_id_y 0
		.amdhsa_system_sgpr_workgroup_id_z 0
		.amdhsa_system_sgpr_workgroup_info 0
		.amdhsa_system_vgpr_workitem_id 0
		.amdhsa_next_free_vgpr 123
		.amdhsa_next_free_sgpr 22
		.amdhsa_reserve_vcc 1
		.amdhsa_reserve_flat_scratch 0
		.amdhsa_float_round_mode_32 0
		.amdhsa_float_round_mode_16_64 0
		.amdhsa_float_denorm_mode_32 3
		.amdhsa_float_denorm_mode_16_64 3
		.amdhsa_dx10_clamp 1
		.amdhsa_ieee_mode 1
		.amdhsa_fp16_overflow 0
		.amdhsa_exception_fp_ieee_invalid_op 0
		.amdhsa_exception_fp_denorm_src 0
		.amdhsa_exception_fp_ieee_div_zero 0
		.amdhsa_exception_fp_ieee_overflow 0
		.amdhsa_exception_fp_ieee_underflow 0
		.amdhsa_exception_fp_ieee_inexact 0
		.amdhsa_exception_int_div_zero 0
	.end_amdhsa_kernel
	.text
.Lfunc_end0:
	.size	fft_rtc_back_len1260_factors_2_2_3_3_5_7_wgs_63_tpt_63_halfLds_sp_ip_CI_unitstride_sbrr_R2C_dirReg, .Lfunc_end0-fft_rtc_back_len1260_factors_2_2_3_3_5_7_wgs_63_tpt_63_halfLds_sp_ip_CI_unitstride_sbrr_R2C_dirReg
                                        ; -- End function
	.section	.AMDGPU.csdata,"",@progbits
; Kernel info:
; codeLenInByte = 13284
; NumSgprs: 26
; NumVgprs: 123
; ScratchSize: 0
; MemoryBound: 0
; FloatMode: 240
; IeeeMode: 1
; LDSByteSize: 0 bytes/workgroup (compile time only)
; SGPRBlocks: 3
; VGPRBlocks: 30
; NumSGPRsForWavesPerEU: 26
; NumVGPRsForWavesPerEU: 123
; Occupancy: 2
; WaveLimiterHint : 1
; COMPUTE_PGM_RSRC2:SCRATCH_EN: 0
; COMPUTE_PGM_RSRC2:USER_SGPR: 6
; COMPUTE_PGM_RSRC2:TRAP_HANDLER: 0
; COMPUTE_PGM_RSRC2:TGID_X_EN: 1
; COMPUTE_PGM_RSRC2:TGID_Y_EN: 0
; COMPUTE_PGM_RSRC2:TGID_Z_EN: 0
; COMPUTE_PGM_RSRC2:TIDIG_COMP_CNT: 0
	.type	__hip_cuid_4c415210592200be,@object ; @__hip_cuid_4c415210592200be
	.section	.bss,"aw",@nobits
	.globl	__hip_cuid_4c415210592200be
__hip_cuid_4c415210592200be:
	.byte	0                               ; 0x0
	.size	__hip_cuid_4c415210592200be, 1

	.ident	"AMD clang version 19.0.0git (https://github.com/RadeonOpenCompute/llvm-project roc-6.4.0 25133 c7fe45cf4b819c5991fe208aaa96edf142730f1d)"
	.section	".note.GNU-stack","",@progbits
	.addrsig
	.addrsig_sym __hip_cuid_4c415210592200be
	.amdgpu_metadata
---
amdhsa.kernels:
  - .args:
      - .actual_access:  read_only
        .address_space:  global
        .offset:         0
        .size:           8
        .value_kind:     global_buffer
      - .offset:         8
        .size:           8
        .value_kind:     by_value
      - .actual_access:  read_only
        .address_space:  global
        .offset:         16
        .size:           8
        .value_kind:     global_buffer
      - .actual_access:  read_only
        .address_space:  global
        .offset:         24
        .size:           8
        .value_kind:     global_buffer
      - .offset:         32
        .size:           8
        .value_kind:     by_value
      - .actual_access:  read_only
        .address_space:  global
        .offset:         40
        .size:           8
        .value_kind:     global_buffer
      - .actual_access:  read_only
        .address_space:  global
        .offset:         48
        .size:           8
        .value_kind:     global_buffer
      - .offset:         56
        .size:           4
        .value_kind:     by_value
      - .actual_access:  read_only
        .address_space:  global
        .offset:         64
        .size:           8
        .value_kind:     global_buffer
      - .actual_access:  read_only
        .address_space:  global
        .offset:         72
        .size:           8
        .value_kind:     global_buffer
      - .address_space:  global
        .offset:         80
        .size:           8
        .value_kind:     global_buffer
    .group_segment_fixed_size: 0
    .kernarg_segment_align: 8
    .kernarg_segment_size: 88
    .language:       OpenCL C
    .language_version:
      - 2
      - 0
    .max_flat_workgroup_size: 63
    .name:           fft_rtc_back_len1260_factors_2_2_3_3_5_7_wgs_63_tpt_63_halfLds_sp_ip_CI_unitstride_sbrr_R2C_dirReg
    .private_segment_fixed_size: 0
    .sgpr_count:     26
    .sgpr_spill_count: 0
    .symbol:         fft_rtc_back_len1260_factors_2_2_3_3_5_7_wgs_63_tpt_63_halfLds_sp_ip_CI_unitstride_sbrr_R2C_dirReg.kd
    .uniform_work_group_size: 1
    .uses_dynamic_stack: false
    .vgpr_count:     123
    .vgpr_spill_count: 0
    .wavefront_size: 64
amdhsa.target:   amdgcn-amd-amdhsa--gfx906
amdhsa.version:
  - 1
  - 2
...

	.end_amdgpu_metadata
